;; amdgpu-corpus repo=ROCm/rocFFT kind=compiled arch=gfx1030 opt=O3
	.text
	.amdgcn_target "amdgcn-amd-amdhsa--gfx1030"
	.amdhsa_code_object_version 6
	.protected	fft_rtc_fwd_len1547_factors_17_7_13_wgs_119_tpt_119_halfLds_sp_ip_CI_sbrr_dirReg ; -- Begin function fft_rtc_fwd_len1547_factors_17_7_13_wgs_119_tpt_119_halfLds_sp_ip_CI_sbrr_dirReg
	.globl	fft_rtc_fwd_len1547_factors_17_7_13_wgs_119_tpt_119_halfLds_sp_ip_CI_sbrr_dirReg
	.p2align	8
	.type	fft_rtc_fwd_len1547_factors_17_7_13_wgs_119_tpt_119_halfLds_sp_ip_CI_sbrr_dirReg,@function
fft_rtc_fwd_len1547_factors_17_7_13_wgs_119_tpt_119_halfLds_sp_ip_CI_sbrr_dirReg: ; @fft_rtc_fwd_len1547_factors_17_7_13_wgs_119_tpt_119_halfLds_sp_ip_CI_sbrr_dirReg
; %bb.0:
	s_clause 0x2
	s_load_dwordx2 s[14:15], s[4:5], 0x18
	s_load_dwordx4 s[8:11], s[4:5], 0x0
	s_load_dwordx2 s[12:13], s[4:5], 0x50
	v_mul_u32_u24_e32 v1, 0x227, v0
	v_mov_b32_e32 v3, 0
	v_add_nc_u32_sdwa v5, s6, v1 dst_sel:DWORD dst_unused:UNUSED_PAD src0_sel:DWORD src1_sel:WORD_1
	v_mov_b32_e32 v1, 0
	v_mov_b32_e32 v6, v3
	v_mov_b32_e32 v2, 0
	s_waitcnt lgkmcnt(0)
	s_load_dwordx2 s[2:3], s[14:15], 0x0
	v_cmp_lt_u64_e64 s0, s[10:11], 2
	s_and_b32 vcc_lo, exec_lo, s0
	s_cbranch_vccnz .LBB0_8
; %bb.1:
	s_load_dwordx2 s[0:1], s[4:5], 0x10
	v_mov_b32_e32 v1, 0
	s_add_u32 s6, s14, 8
	v_mov_b32_e32 v2, 0
	s_addc_u32 s7, s15, 0
	s_mov_b64 s[18:19], 1
	s_waitcnt lgkmcnt(0)
	s_add_u32 s16, s0, 8
	s_addc_u32 s17, s1, 0
.LBB0_2:                                ; =>This Inner Loop Header: Depth=1
	s_load_dwordx2 s[20:21], s[16:17], 0x0
                                        ; implicit-def: $vgpr7_vgpr8
	s_mov_b32 s0, exec_lo
	s_waitcnt lgkmcnt(0)
	v_or_b32_e32 v4, s21, v6
	v_cmpx_ne_u64_e32 0, v[3:4]
	s_xor_b32 s1, exec_lo, s0
	s_cbranch_execz .LBB0_4
; %bb.3:                                ;   in Loop: Header=BB0_2 Depth=1
	v_cvt_f32_u32_e32 v4, s20
	v_cvt_f32_u32_e32 v7, s21
	s_sub_u32 s0, 0, s20
	s_subb_u32 s22, 0, s21
	v_fmac_f32_e32 v4, 0x4f800000, v7
	v_rcp_f32_e32 v4, v4
	v_mul_f32_e32 v4, 0x5f7ffffc, v4
	v_mul_f32_e32 v7, 0x2f800000, v4
	v_trunc_f32_e32 v7, v7
	v_fmac_f32_e32 v4, 0xcf800000, v7
	v_cvt_u32_f32_e32 v7, v7
	v_cvt_u32_f32_e32 v4, v4
	v_mul_lo_u32 v8, s0, v7
	v_mul_hi_u32 v9, s0, v4
	v_mul_lo_u32 v10, s22, v4
	v_add_nc_u32_e32 v8, v9, v8
	v_mul_lo_u32 v9, s0, v4
	v_add_nc_u32_e32 v8, v8, v10
	v_mul_hi_u32 v10, v4, v9
	v_mul_lo_u32 v11, v4, v8
	v_mul_hi_u32 v12, v4, v8
	v_mul_hi_u32 v13, v7, v9
	v_mul_lo_u32 v9, v7, v9
	v_mul_hi_u32 v14, v7, v8
	v_mul_lo_u32 v8, v7, v8
	v_add_co_u32 v10, vcc_lo, v10, v11
	v_add_co_ci_u32_e32 v11, vcc_lo, 0, v12, vcc_lo
	v_add_co_u32 v9, vcc_lo, v10, v9
	v_add_co_ci_u32_e32 v9, vcc_lo, v11, v13, vcc_lo
	v_add_co_ci_u32_e32 v10, vcc_lo, 0, v14, vcc_lo
	v_add_co_u32 v8, vcc_lo, v9, v8
	v_add_co_ci_u32_e32 v9, vcc_lo, 0, v10, vcc_lo
	v_add_co_u32 v4, vcc_lo, v4, v8
	v_add_co_ci_u32_e32 v7, vcc_lo, v7, v9, vcc_lo
	v_mul_hi_u32 v8, s0, v4
	v_mul_lo_u32 v10, s22, v4
	v_mul_lo_u32 v9, s0, v7
	v_add_nc_u32_e32 v8, v8, v9
	v_mul_lo_u32 v9, s0, v4
	v_add_nc_u32_e32 v8, v8, v10
	v_mul_hi_u32 v10, v4, v9
	v_mul_lo_u32 v11, v4, v8
	v_mul_hi_u32 v12, v4, v8
	v_mul_hi_u32 v13, v7, v9
	v_mul_lo_u32 v9, v7, v9
	v_mul_hi_u32 v14, v7, v8
	v_mul_lo_u32 v8, v7, v8
	v_add_co_u32 v10, vcc_lo, v10, v11
	v_add_co_ci_u32_e32 v11, vcc_lo, 0, v12, vcc_lo
	v_add_co_u32 v9, vcc_lo, v10, v9
	v_add_co_ci_u32_e32 v9, vcc_lo, v11, v13, vcc_lo
	v_add_co_ci_u32_e32 v10, vcc_lo, 0, v14, vcc_lo
	v_add_co_u32 v8, vcc_lo, v9, v8
	v_add_co_ci_u32_e32 v9, vcc_lo, 0, v10, vcc_lo
	v_add_co_u32 v4, vcc_lo, v4, v8
	v_add_co_ci_u32_e32 v11, vcc_lo, v7, v9, vcc_lo
	v_mul_hi_u32 v13, v5, v4
	v_mad_u64_u32 v[9:10], null, v6, v4, 0
	v_mad_u64_u32 v[7:8], null, v5, v11, 0
	;; [unrolled: 1-line block ×3, first 2 shown]
	v_add_co_u32 v4, vcc_lo, v13, v7
	v_add_co_ci_u32_e32 v7, vcc_lo, 0, v8, vcc_lo
	v_add_co_u32 v4, vcc_lo, v4, v9
	v_add_co_ci_u32_e32 v4, vcc_lo, v7, v10, vcc_lo
	v_add_co_ci_u32_e32 v7, vcc_lo, 0, v12, vcc_lo
	v_add_co_u32 v4, vcc_lo, v4, v11
	v_add_co_ci_u32_e32 v9, vcc_lo, 0, v7, vcc_lo
	v_mul_lo_u32 v10, s21, v4
	v_mad_u64_u32 v[7:8], null, s20, v4, 0
	v_mul_lo_u32 v11, s20, v9
	v_sub_co_u32 v7, vcc_lo, v5, v7
	v_add3_u32 v8, v8, v11, v10
	v_sub_nc_u32_e32 v10, v6, v8
	v_subrev_co_ci_u32_e64 v10, s0, s21, v10, vcc_lo
	v_add_co_u32 v11, s0, v4, 2
	v_add_co_ci_u32_e64 v12, s0, 0, v9, s0
	v_sub_co_u32 v13, s0, v7, s20
	v_sub_co_ci_u32_e32 v8, vcc_lo, v6, v8, vcc_lo
	v_subrev_co_ci_u32_e64 v10, s0, 0, v10, s0
	v_cmp_le_u32_e32 vcc_lo, s20, v13
	v_cmp_eq_u32_e64 s0, s21, v8
	v_cndmask_b32_e64 v13, 0, -1, vcc_lo
	v_cmp_le_u32_e32 vcc_lo, s21, v10
	v_cndmask_b32_e64 v14, 0, -1, vcc_lo
	v_cmp_le_u32_e32 vcc_lo, s20, v7
	;; [unrolled: 2-line block ×3, first 2 shown]
	v_cndmask_b32_e64 v15, 0, -1, vcc_lo
	v_cmp_eq_u32_e32 vcc_lo, s21, v10
	v_cndmask_b32_e64 v7, v15, v7, s0
	v_cndmask_b32_e32 v10, v14, v13, vcc_lo
	v_add_co_u32 v13, vcc_lo, v4, 1
	v_add_co_ci_u32_e32 v14, vcc_lo, 0, v9, vcc_lo
	v_cmp_ne_u32_e32 vcc_lo, 0, v10
	v_cndmask_b32_e32 v8, v14, v12, vcc_lo
	v_cndmask_b32_e32 v10, v13, v11, vcc_lo
	v_cmp_ne_u32_e32 vcc_lo, 0, v7
	v_cndmask_b32_e32 v8, v9, v8, vcc_lo
	v_cndmask_b32_e32 v7, v4, v10, vcc_lo
.LBB0_4:                                ;   in Loop: Header=BB0_2 Depth=1
	s_andn2_saveexec_b32 s0, s1
	s_cbranch_execz .LBB0_6
; %bb.5:                                ;   in Loop: Header=BB0_2 Depth=1
	v_cvt_f32_u32_e32 v4, s20
	s_sub_i32 s1, 0, s20
	v_rcp_iflag_f32_e32 v4, v4
	v_mul_f32_e32 v4, 0x4f7ffffe, v4
	v_cvt_u32_f32_e32 v4, v4
	v_mul_lo_u32 v7, s1, v4
	v_mul_hi_u32 v7, v4, v7
	v_add_nc_u32_e32 v4, v4, v7
	v_mul_hi_u32 v4, v5, v4
	v_mul_lo_u32 v7, v4, s20
	v_add_nc_u32_e32 v8, 1, v4
	v_sub_nc_u32_e32 v7, v5, v7
	v_subrev_nc_u32_e32 v9, s20, v7
	v_cmp_le_u32_e32 vcc_lo, s20, v7
	v_cndmask_b32_e32 v7, v7, v9, vcc_lo
	v_cndmask_b32_e32 v4, v4, v8, vcc_lo
	v_cmp_le_u32_e32 vcc_lo, s20, v7
	v_add_nc_u32_e32 v8, 1, v4
	v_cndmask_b32_e32 v7, v4, v8, vcc_lo
	v_mov_b32_e32 v8, v3
.LBB0_6:                                ;   in Loop: Header=BB0_2 Depth=1
	s_or_b32 exec_lo, exec_lo, s0
	s_load_dwordx2 s[0:1], s[6:7], 0x0
	v_mul_lo_u32 v4, v8, s20
	v_mul_lo_u32 v11, v7, s21
	v_mad_u64_u32 v[9:10], null, v7, s20, 0
	s_add_u32 s18, s18, 1
	s_addc_u32 s19, s19, 0
	s_add_u32 s6, s6, 8
	s_addc_u32 s7, s7, 0
	;; [unrolled: 2-line block ×3, first 2 shown]
	v_add3_u32 v4, v10, v11, v4
	v_sub_co_u32 v5, vcc_lo, v5, v9
	v_sub_co_ci_u32_e32 v4, vcc_lo, v6, v4, vcc_lo
	s_waitcnt lgkmcnt(0)
	v_mul_lo_u32 v6, s1, v5
	v_mul_lo_u32 v4, s0, v4
	v_mad_u64_u32 v[1:2], null, s0, v5, v[1:2]
	v_cmp_ge_u64_e64 s0, s[18:19], s[10:11]
	s_and_b32 vcc_lo, exec_lo, s0
	v_add3_u32 v2, v6, v2, v4
	s_cbranch_vccnz .LBB0_9
; %bb.7:                                ;   in Loop: Header=BB0_2 Depth=1
	v_mov_b32_e32 v5, v7
	v_mov_b32_e32 v6, v8
	s_branch .LBB0_2
.LBB0_8:
	v_mov_b32_e32 v8, v6
	v_mov_b32_e32 v7, v5
.LBB0_9:
	s_lshl_b64 s[0:1], s[10:11], 3
	v_mul_hi_u32 v3, 0x226b903, v0
	s_add_u32 s0, s14, s0
	s_addc_u32 s1, s15, s1
	v_mov_b32_e32 v4, 0
	s_load_dwordx2 s[0:1], s[0:1], 0x0
	s_load_dwordx2 s[4:5], s[4:5], 0x20
	v_mov_b32_e32 v55, 0
                                        ; implicit-def: $vgpr14
                                        ; implicit-def: $vgpr10
                                        ; implicit-def: $vgpr20
                                        ; implicit-def: $vgpr18
                                        ; implicit-def: $vgpr12
                                        ; implicit-def: $vgpr38
                                        ; implicit-def: $vgpr24
                                        ; implicit-def: $vgpr22
                                        ; implicit-def: $vgpr26
                                        ; implicit-def: $vgpr30
                                        ; implicit-def: $vgpr34
                                        ; implicit-def: $vgpr36
                                        ; implicit-def: $vgpr40
                                        ; implicit-def: $vgpr28
	v_mul_u32_u24_e32 v3, 0x77, v3
	v_sub_nc_u32_e32 v0, v0, v3
	v_mov_b32_e32 v3, 0
	s_waitcnt lgkmcnt(0)
	v_mul_lo_u32 v5, s0, v8
	v_mul_lo_u32 v6, s1, v7
	v_mad_u64_u32 v[1:2], null, s0, v7, v[1:2]
	v_cmp_gt_u64_e32 vcc_lo, s[4:5], v[7:8]
                                        ; implicit-def: $vgpr8
	v_add3_u32 v2, v6, v2, v5
                                        ; implicit-def: $vgpr6
	s_and_saveexec_b32 s1, vcc_lo
	s_cbranch_execz .LBB0_13
; %bb.10:
	v_mov_b32_e32 v3, 0
	v_mov_b32_e32 v4, 0
	s_mov_b32 s4, exec_lo
                                        ; implicit-def: $vgpr27
                                        ; implicit-def: $vgpr39
                                        ; implicit-def: $vgpr35
                                        ; implicit-def: $vgpr33
                                        ; implicit-def: $vgpr29
                                        ; implicit-def: $vgpr25
                                        ; implicit-def: $vgpr21
                                        ; implicit-def: $vgpr23
                                        ; implicit-def: $vgpr37
                                        ; implicit-def: $vgpr7
                                        ; implicit-def: $vgpr11
                                        ; implicit-def: $vgpr17
                                        ; implicit-def: $vgpr19
                                        ; implicit-def: $vgpr5
                                        ; implicit-def: $vgpr9
                                        ; implicit-def: $vgpr13
	v_cmpx_gt_u32_e32 0x5b, v0
	s_cbranch_execz .LBB0_12
; %bb.11:
	v_add_nc_u32_e32 v12, 0x5b, v0
	v_add_nc_u32_e32 v14, 0xb6, v0
	v_mad_u64_u32 v[3:4], null, s2, v0, 0
	v_add_nc_u32_e32 v15, 0x111, v0
	v_mad_u64_u32 v[5:6], null, s2, v12, 0
	v_mad_u64_u32 v[7:8], null, s2, v14, 0
	v_add_nc_u32_e32 v17, 0x16c, v0
	v_add_nc_u32_e32 v18, 0x1c7, v0
	;; [unrolled: 1-line block ×4, first 2 shown]
	v_mad_u64_u32 v[9:10], null, s3, v0, v[4:5]
	v_mov_b32_e32 v4, v6
	v_mov_b32_e32 v6, v8
	v_lshlrev_b64 v[10:11], 3, v[1:2]
	v_mad_u64_u32 v[19:20], null, s2, v23, 0
	v_mad_u64_u32 v[12:13], null, s3, v12, v[4:5]
	v_mov_b32_e32 v4, v9
	v_mad_u64_u32 v[8:9], null, s3, v14, v[6:7]
	v_mad_u64_u32 v[13:14], null, s2, v15, 0
	v_add_co_u32 v45, s0, s12, v10
	v_add_co_ci_u32_e64 v46, s0, s13, v11, s0
	v_mov_b32_e32 v6, v12
	v_mad_u64_u32 v[11:12], null, s2, v17, 0
	v_mov_b32_e32 v9, v14
	v_lshlrev_b64 v[3:4], 3, v[3:4]
	v_lshlrev_b64 v[5:6], 3, v[5:6]
	;; [unrolled: 1-line block ×3, first 2 shown]
	v_mad_u64_u32 v[21:22], null, s2, v24, 0
	v_mad_u64_u32 v[9:10], null, s3, v15, v[9:10]
	;; [unrolled: 1-line block ×3, first 2 shown]
	v_add_co_u32 v3, s0, v45, v3
	v_add_co_ci_u32_e64 v4, s0, v46, v4, s0
	v_mov_b32_e32 v14, v9
	v_mov_b32_e32 v9, v12
	v_mov_b32_e32 v10, v16
	v_add_co_u32 v5, s0, v45, v5
	v_lshlrev_b64 v[12:13], 3, v[13:14]
	v_add_co_ci_u32_e64 v6, s0, v46, v6, s0
	v_mad_u64_u32 v[16:17], null, s3, v17, v[9:10]
	v_mad_u64_u32 v[9:10], null, s3, v18, v[10:11]
	v_add_co_u32 v7, s0, v45, v7
	v_add_co_ci_u32_e64 v8, s0, v46, v8, s0
	v_add_co_u32 v17, s0, v45, v12
	v_add_co_ci_u32_e64 v18, s0, v46, v13, s0
	v_mov_b32_e32 v12, v16
	v_mov_b32_e32 v16, v9
	s_clause 0x3
	global_load_dwordx2 v[3:4], v[3:4], off
	global_load_dwordx2 v[13:14], v[5:6], off
	;; [unrolled: 1-line block ×4, first 2 shown]
	v_add_nc_u32_e32 v25, 0x2d8, v0
	v_add_nc_u32_e32 v29, 0x333, v0
	v_lshlrev_b64 v[7:8], 3, v[11:12]
	v_mov_b32_e32 v11, v20
	v_mov_b32_e32 v12, v22
	v_lshlrev_b64 v[15:16], 3, v[15:16]
	v_add_nc_u32_e32 v31, 0x38e, v0
	v_add_nc_u32_e32 v33, 0x444, v0
	v_add_co_u32 v7, s0, v45, v7
	v_mad_u64_u32 v[17:18], null, s3, v23, v[11:12]
	v_add_co_ci_u32_e64 v8, s0, v46, v8, s0
	v_mad_u64_u32 v[27:28], null, s2, v31, 0
	v_add_nc_u32_e32 v36, 0x49f, v0
	v_add_nc_u32_e32 v47, 0x555, v0
	v_mov_b32_e32 v20, v17
	v_mad_u64_u32 v[41:42], null, s2, v47, 0
	s_waitcnt vmcnt(2)
	v_mad_u64_u32 v[11:12], null, s3, v24, v[12:13]
	v_mad_u64_u32 v[23:24], null, s2, v25, 0
	v_mov_b32_e32 v22, v11
	v_add_co_u32 v11, s0, v45, v15
	v_add_co_ci_u32_e64 v12, s0, v46, v16, s0
	v_lshlrev_b64 v[16:17], 3, v[19:20]
	v_mov_b32_e32 v15, v24
	v_lshlrev_b64 v[18:19], 3, v[21:22]
	v_mad_u64_u32 v[20:21], null, s3, v25, v[15:16]
	v_mad_u64_u32 v[21:22], null, s2, v29, 0
	v_add_co_u32 v15, s0, v45, v16
	v_add_co_ci_u32_e64 v16, s0, v46, v17, s0
	v_add_co_u32 v25, s0, v45, v18
	v_mov_b32_e32 v17, v22
	v_add_co_ci_u32_e64 v26, s0, v46, v19, s0
	v_mov_b32_e32 v24, v20
	v_mad_u64_u32 v[29:30], null, s3, v29, v[17:18]
	s_clause 0x3
	global_load_dwordx2 v[19:20], v[7:8], off
	global_load_dwordx2 v[17:18], v[11:12], off
	;; [unrolled: 1-line block ×4, first 2 shown]
	v_add_nc_u32_e32 v30, 0x3e9, v0
	v_lshlrev_b64 v[15:16], 3, v[23:24]
	v_mov_b32_e32 v23, v28
	v_mad_u64_u32 v[24:25], null, s2, v30, 0
	v_mov_b32_e32 v22, v29
	v_add_co_u32 v15, s0, v45, v15
	v_add_co_ci_u32_e64 v16, s0, v46, v16, s0
	v_lshlrev_b64 v[21:22], 3, v[21:22]
	v_mad_u64_u32 v[28:29], null, s3, v31, v[23:24]
	v_mov_b32_e32 v23, v25
	v_mad_u64_u32 v[31:32], null, s2, v36, 0
	v_add_co_u32 v21, s0, v45, v21
	v_mad_u64_u32 v[25:26], null, s3, v30, v[23:24]
	v_mad_u64_u32 v[29:30], null, s2, v33, 0
	v_lshlrev_b64 v[26:27], 3, v[27:28]
	v_add_nc_u32_e32 v28, 0x4fa, v0
	v_add_co_ci_u32_e64 v22, s0, v46, v22, s0
	v_lshlrev_b64 v[24:25], 3, v[24:25]
	v_mov_b32_e32 v23, v30
	v_add_co_u32 v26, s0, v45, v26
	v_add_co_ci_u32_e64 v27, s0, v46, v27, s0
	v_mad_u64_u32 v[33:34], null, s3, v33, v[23:24]
	v_mov_b32_e32 v23, v32
	v_mad_u64_u32 v[34:35], null, s2, v28, 0
	v_add_co_u32 v39, s0, v45, v24
	v_add_co_ci_u32_e64 v40, s0, v46, v25, s0
	v_mov_b32_e32 v30, v33
	v_mad_u64_u32 v[32:33], null, s3, v36, v[23:24]
	v_add_nc_u32_e32 v33, 0x5b0, v0
	v_mov_b32_e32 v23, v35
	v_mad_u64_u32 v[43:44], null, s2, v33, 0
	v_mad_u64_u32 v[35:36], null, s3, v28, v[23:24]
	s_clause 0x3
	global_load_dwordx2 v[37:38], v[15:16], off
	global_load_dwordx2 v[23:24], v[21:22], off
	;; [unrolled: 1-line block ×4, first 2 shown]
	v_mov_b32_e32 v15, v42
	v_lshlrev_b64 v[25:26], 3, v[29:30]
	v_lshlrev_b64 v[29:30], 3, v[31:32]
	v_mad_u64_u32 v[15:16], null, s3, v47, v[15:16]
	v_mov_b32_e32 v16, v44
	v_add_co_u32 v25, s0, v45, v25
	v_add_co_ci_u32_e64 v26, s0, v46, v26, s0
	v_mov_b32_e32 v42, v15
	v_add_co_u32 v15, s0, v45, v29
	s_waitcnt vmcnt(6)
	v_mad_u64_u32 v[31:32], null, s3, v33, v[16:17]
	v_lshlrev_b64 v[32:33], 3, v[34:35]
	v_add_co_ci_u32_e64 v16, s0, v46, v30, s0
	v_lshlrev_b64 v[29:30], 3, v[41:42]
	v_mov_b32_e32 v44, v31
	v_add_co_u32 v31, s0, v45, v32
	v_add_co_ci_u32_e64 v32, s0, v46, v33, s0
	v_lshlrev_b64 v[33:34], 3, v[43:44]
	v_add_co_u32 v29, s0, v45, v29
	v_add_co_ci_u32_e64 v30, s0, v46, v30, s0
	v_add_co_u32 v41, s0, v45, v33
	v_add_co_ci_u32_e64 v42, s0, v46, v34, s0
	s_clause 0x4
	global_load_dwordx2 v[39:40], v[25:26], off
	global_load_dwordx2 v[35:36], v[15:16], off
	;; [unrolled: 1-line block ×5, first 2 shown]
.LBB0_12:
	s_or_b32 exec_lo, exec_lo, s4
	v_mov_b32_e32 v55, v0
.LBB0_13:
	s_or_b32 exec_lo, exec_lo, s1
	s_waitcnt vmcnt(0)
	v_add_f32_e32 v43, v13, v25
	v_sub_f32_e32 v44, v14, v26
	v_add_f32_e32 v45, v9, v29
	v_sub_f32_e32 v46, v10, v30
	v_add_f32_e32 v47, v5, v33
	v_mul_f32_e32 v61, 0xbe8c1d8e, v43
	v_mul_f32_e32 v64, 0xbf1a4643, v43
	;; [unrolled: 1-line block ×4, first 2 shown]
	v_sub_f32_e32 v48, v6, v34
	v_fmamk_f32 v15, v44, 0xbf763a35, v61
	v_fmamk_f32 v16, v44, 0xbf4c4adb, v64
	;; [unrolled: 1-line block ×3, first 2 shown]
	v_mul_f32_e32 v63, 0x3f3d2fb0, v47
	v_add_f32_e32 v49, v19, v35
	v_add_f32_e32 v15, v3, v15
	v_fmamk_f32 v32, v46, 0x3f763a35, v66
	v_add_f32_e32 v16, v3, v16
	v_mul_f32_e32 v67, 0x3f6eb680, v47
	v_sub_f32_e32 v50, v20, v36
	v_add_f32_e32 v15, v15, v31
	v_fmamk_f32 v31, v48, 0x3f2c7751, v63
	v_mul_f32_e32 v65, 0x3ee437d1, v49
	v_add_f32_e32 v51, v17, v39
	v_add_f32_e32 v16, v16, v32
	v_fmamk_f32 v32, v48, 0xbeb8f4ab, v67
	v_mul_f32_e32 v69, 0xbf59a7d5, v49
	v_add_f32_e32 v15, v15, v31
	v_fmamk_f32 v31, v50, 0xbf65296c, v65
	v_sub_f32_e32 v52, v18, v40
	v_mul_f32_e32 v68, 0xbf7ba420, v51
	v_add_f32_e32 v53, v11, v21
	v_add_f32_e32 v16, v16, v32
	v_fmamk_f32 v32, v50, 0xbf06c442, v69
	v_mul_f32_e32 v71, 0x3dbcf732, v51
	v_add_f32_e32 v15, v15, v31
	v_fmamk_f32 v31, v52, 0xbe3c28d5, v68
	v_sub_f32_e32 v54, v12, v22
	v_mul_f32_e32 v70, 0x3dbcf732, v53
	v_add_f32_e32 v56, v7, v27
	v_add_f32_e32 v16, v16, v32
	v_fmamk_f32 v32, v52, 0x3f7ee86f, v71
	v_add_f32_e32 v15, v15, v31
	v_mul_f32_e32 v74, 0x3f3d2fb0, v53
	v_fmamk_f32 v31, v54, 0x3f7ee86f, v70
	v_sub_f32_e32 v58, v8, v28
	v_mul_f32_e32 v72, 0x3f6eb680, v56
	v_add_f32_e32 v16, v16, v32
	v_fmamk_f32 v32, v54, 0xbf2c7751, v74
	v_mul_f32_e32 v73, 0xbf7ba420, v56
	v_add_f32_e32 v15, v31, v15
	v_fmamk_f32 v31, v58, 0xbeb8f4ab, v72
	;; [unrolled: 3-line block ×3, first 2 shown]
	v_mul_f32_e32 v42, 0x3ee437d1, v45
	v_add_f32_e32 v15, v15, v31
	v_mul_f32_e32 v31, 0xbf7ba420, v43
	v_mul_f32_e32 v77, 0x3f6eb680, v45
	v_add_f32_e32 v32, v16, v32
	v_fmamk_f32 v16, v44, 0x3f06c442, v41
	v_add_f32_e32 v59, v37, v23
	v_fmamk_f32 v57, v44, 0x3e3c28d5, v31
	v_fmamk_f32 v76, v46, 0xbf65296c, v42
	v_fmamk_f32 v78, v46, 0xbeb8f4ab, v77
	v_add_f32_e32 v16, v3, v16
	v_mul_f32_e32 v79, 0x3dbcf732, v47
	v_add_f32_e32 v57, v3, v57
	v_mul_f32_e32 v80, 0xbf59a7d5, v47
	v_sub_f32_e32 v60, v38, v24
	v_mul_f32_e32 v75, 0xbf1a4643, v59
	v_add_f32_e32 v16, v16, v76
	v_add_f32_e32 v57, v57, v78
	v_fmamk_f32 v76, v48, 0x3f7ee86f, v79
	v_fmamk_f32 v78, v48, 0x3f06c442, v80
	v_mul_f32_e32 v81, 0xbf1a4643, v49
	v_mul_f32_e32 v85, 0x3f3d2fb0, v49
	v_fmamk_f32 v82, v60, 0xbf4c4adb, v75
	v_add_f32_e32 v76, v16, v76
	v_add_f32_e32 v57, v57, v78
	v_fmamk_f32 v78, v50, 0xbf4c4adb, v81
	v_fmamk_f32 v83, v50, 0xbf2c7751, v85
	v_mul_f32_e32 v86, 0x3f6eb680, v51
	v_mul_f32_e32 v87, 0xbf1a4643, v51
	v_add_f32_e32 v16, v82, v15
	v_add_f32_e32 v15, v76, v78
	;; [unrolled: 1-line block ×3, first 2 shown]
	v_fmamk_f32 v78, v52, 0x3eb8f4ab, v86
	v_fmamk_f32 v82, v52, 0x3f4c4adb, v87
	v_mul_f32_e32 v88, 0xbf7ba420, v53
	v_mul_f32_e32 v89, 0x3ee437d1, v53
	;; [unrolled: 1-line block ×3, first 2 shown]
	v_add_f32_e32 v15, v15, v78
	v_add_f32_e32 v57, v57, v82
	v_fmamk_f32 v78, v54, 0x3e3c28d5, v88
	v_fmamk_f32 v82, v54, 0xbf65296c, v89
	v_mul_f32_e32 v90, 0x3f3d2fb0, v56
	v_fmamk_f32 v83, v60, 0x3f65296c, v76
	v_fmac_f32_e32 v31, 0xbe3c28d5, v44
	v_add_f32_e32 v78, v78, v15
	v_add_f32_e32 v57, v82, v57
	v_fmamk_f32 v82, v58, 0xbf2c7751, v90
	v_mul_f32_e32 v91, 0xbe8c1d8e, v56
	v_add_f32_e32 v15, v83, v32
	v_fmac_f32_e32 v41, 0xbf06c442, v44
	v_add_f32_e32 v31, v3, v31
	v_add_f32_e32 v32, v78, v82
	v_fmac_f32_e32 v77, 0x3eb8f4ab, v46
	v_mul_f32_e32 v82, 0x3dbcf732, v43
	v_fmamk_f32 v84, v58, 0x3f763a35, v91
	v_add_f32_e32 v41, v3, v41
	v_fmac_f32_e32 v42, 0x3f65296c, v46
	v_add_f32_e32 v31, v31, v77
	v_fmamk_f32 v77, v44, 0xbf7ee86f, v82
	v_mul_f32_e32 v83, 0xbf7ba420, v45
	v_add_f32_e32 v57, v57, v84
	v_add_f32_e32 v41, v41, v42
	v_fmac_f32_e32 v79, 0xbf7ee86f, v48
	v_add_f32_e32 v77, v3, v77
	v_fmamk_f32 v78, v46, 0xbe3c28d5, v83
	v_mul_f32_e32 v84, 0xbe8c1d8e, v47
	v_fmac_f32_e32 v80, 0xbf06c442, v48
	v_add_f32_e32 v41, v41, v79
	v_mul_f32_e32 v79, 0x3f6eb680, v49
	v_add_f32_e32 v77, v77, v78
	v_fmamk_f32 v78, v48, 0x3f763a35, v84
	v_fmac_f32_e32 v81, 0x3f4c4adb, v50
	v_add_f32_e32 v31, v31, v80
	v_fmac_f32_e32 v85, 0x3f2c7751, v50
	v_mul_f32_e32 v80, 0x3ee437d1, v51
	v_add_f32_e32 v77, v77, v78
	v_fmamk_f32 v78, v50, 0x3eb8f4ab, v79
	v_add_f32_e32 v41, v41, v81
	v_add_f32_e32 v31, v31, v85
	v_fmac_f32_e32 v86, 0xbeb8f4ab, v52
	v_fmac_f32_e32 v87, 0xbf4c4adb, v52
	v_add_f32_e32 v77, v77, v78
	v_fmamk_f32 v78, v52, 0xbf65296c, v80
	v_mul_f32_e32 v81, 0xbf59a7d5, v53
	v_add_f32_e32 v41, v41, v86
	v_fmac_f32_e32 v88, 0xbe3c28d5, v54
	v_add_f32_e32 v31, v31, v87
	v_fmac_f32_e32 v89, 0x3f65296c, v54
	v_add_f32_e32 v77, v77, v78
	v_fmamk_f32 v85, v54, 0xbf06c442, v81
	v_mul_f32_e32 v78, 0xbf1a4643, v56
	v_mul_f32_e32 v92, 0xbe8c1d8e, v59
	;; [unrolled: 1-line block ×3, first 2 shown]
	v_add_f32_e32 v41, v88, v41
	v_fmac_f32_e32 v90, 0x3f2c7751, v58
	v_add_f32_e32 v31, v89, v31
	v_fmac_f32_e32 v91, 0xbf763a35, v58
	v_add_f32_e32 v85, v85, v77
	v_fmamk_f32 v86, v58, 0x3f4c4adb, v78
	v_mul_f32_e32 v77, 0x3f3d2fb0, v59
	v_fmamk_f32 v93, v60, 0x3f763a35, v92
	v_fmamk_f32 v42, v60, 0xbf7ee86f, v94
	v_add_f32_e32 v41, v41, v90
	v_add_f32_e32 v87, v31, v91
	v_fmac_f32_e32 v92, 0xbf763a35, v60
	v_fmac_f32_e32 v94, 0x3f7ee86f, v60
	v_add_f32_e32 v85, v85, v86
	v_fmamk_f32 v86, v60, 0x3f2c7751, v77
	v_add_f32_e32 v31, v93, v32
	v_add_f32_e32 v32, v42, v57
	;; [unrolled: 1-line block ×5, first 2 shown]
	v_cmp_gt_u32_e64 s1, 0x5b, v0
	s_and_saveexec_b32 s0, s1
	s_cbranch_execz .LBB0_15
; %bb.14:
	v_mul_f32_e32 v85, 0xbf4c4adb, v44
	v_mul_f32_e32 v89, 0x3f763a35, v46
	;; [unrolled: 1-line block ×5, first 2 shown]
	v_sub_f32_e32 v64, v64, v85
	v_sub_f32_e32 v66, v66, v89
	v_mul_f32_e32 v89, 0xbeb8f4ab, v48
	v_mul_f32_e32 v85, 0x3f06c442, v46
	v_sub_f32_e32 v61, v61, v87
	v_add_f32_e32 v64, v3, v64
	v_mul_f32_e32 v87, 0x3f7ee86f, v52
	v_sub_f32_e32 v69, v69, v94
	v_sub_f32_e32 v62, v62, v85
	v_add_f32_e32 v61, v3, v61
	v_add_f32_e32 v64, v64, v66
	v_sub_f32_e32 v66, v67, v89
	v_mul_f32_e32 v86, 0xbf7ee86f, v44
	v_mul_f32_e32 v93, 0xbf65296c, v50
	;; [unrolled: 1-line block ×3, first 2 shown]
	v_sub_f32_e32 v71, v71, v87
	v_add_f32_e32 v64, v64, v66
	v_add_f32_e32 v61, v61, v62
	v_sub_f32_e32 v62, v63, v91
	v_mul_f32_e32 v88, 0xbe3c28d5, v46
	v_mul_f32_e32 v89, 0xbe3c28d5, v52
	v_add_f32_e32 v64, v64, v69
	v_mul_f32_e32 v87, 0xbe3c28d5, v58
	v_add_f32_e32 v61, v61, v62
	v_sub_f32_e32 v62, v65, v93
	v_sub_f32_e32 v82, v82, v86
	v_add_f32_e32 v64, v64, v71
	v_sub_f32_e32 v71, v74, v85
	v_mul_f32_e32 v90, 0x3f763a35, v48
	v_mul_f32_e32 v94, 0x3f7ee86f, v54
	v_add_f32_e32 v61, v61, v62
	v_sub_f32_e32 v62, v68, v89
	v_add_f32_e32 v64, v71, v64
	v_sub_f32_e32 v68, v73, v87
	;; [unrolled: 2-line block ×3, first 2 shown]
	v_mul_f32_e32 v92, 0x3eb8f4ab, v50
	v_mul_f32_e32 v63, 0xbeb8f4ab, v58
	v_add_f32_e32 v61, v61, v62
	v_sub_f32_e32 v62, v70, v94
	v_add_f32_e32 v64, v64, v68
	v_add_f32_e32 v68, v71, v73
	v_sub_f32_e32 v70, v84, v90
	v_mul_f32_e32 v67, 0xbf65296c, v52
	v_mul_f32_e32 v82, 0x3f65296c, v60
	v_add_f32_e32 v61, v62, v61
	v_sub_f32_e32 v63, v72, v63
	v_add_f32_e32 v68, v68, v70
	v_sub_f32_e32 v70, v79, v92
	v_mul_f32_e32 v66, 0xbf06c442, v54
	v_sub_f32_e32 v71, v76, v82
	v_mul_f32_e32 v62, 0xbf65296c, v44
	v_add_f32_e32 v61, v61, v63
	v_add_f32_e32 v63, v68, v70
	v_sub_f32_e32 v67, v80, v67
	v_mul_f32_e32 v69, 0x3f4c4adb, v58
	v_add_f32_e32 v64, v71, v64
	v_fmamk_f32 v71, v43, 0x3ee437d1, v62
	v_mul_f32_e32 v72, 0xbf4c4adb, v46
	v_add_f32_e32 v63, v63, v67
	v_sub_f32_e32 v66, v81, v66
	v_fma_f32 v62, 0x3ee437d1, v43, -v62
	v_mul_f32_e32 v65, 0x3f2c7751, v60
	v_add_f32_e32 v68, v3, v71
	v_fmamk_f32 v70, v45, 0xbf1a4643, v72
	v_mul_f32_e32 v71, 0x3e3c28d5, v48
	v_add_f32_e32 v63, v66, v63
	v_sub_f32_e32 v69, v78, v69
	v_add_f32_e32 v62, v3, v62
	v_fma_f32 v72, 0xbf1a4643, v45, -v72
	v_mul_f32_e32 v74, 0xbf4c4adb, v60
	v_add_f32_e32 v67, v68, v70
	v_fmamk_f32 v68, v47, 0xbf7ba420, v71
	v_mul_f32_e32 v70, 0x3f763a35, v50
	v_add_f32_e32 v63, v63, v69
	v_add_f32_e32 v62, v62, v72
	v_fma_f32 v69, 0xbf7ba420, v47, -v71
	v_sub_f32_e32 v65, v77, v65
	v_sub_f32_e32 v73, v75, v74
	v_add_f32_e32 v66, v67, v68
	v_fmamk_f32 v67, v49, 0xbe8c1d8e, v70
	v_mul_f32_e32 v68, 0x3f2c7751, v52
	v_add_f32_e32 v62, v62, v69
	v_fma_f32 v69, 0xbe8c1d8e, v49, -v70
	v_add_f32_e32 v63, v65, v63
	v_mul_f32_e32 v65, 0xbf2c7751, v44
	v_add_f32_e32 v61, v73, v61
	v_add_f32_e32 v66, v66, v67
	v_fmamk_f32 v67, v51, 0x3f3d2fb0, v68
	v_mul_f32_e32 v73, 0xbeb8f4ab, v54
	v_add_f32_e32 v62, v62, v69
	v_fma_f32 v68, 0x3f3d2fb0, v51, -v68
	v_fmamk_f32 v69, v43, 0x3f3d2fb0, v65
	v_mul_f32_e32 v70, 0xbf7ee86f, v46
	v_add_f32_e32 v66, v66, v67
	v_fmamk_f32 v67, v53, 0x3f6eb680, v73
	v_mul_f32_e32 v71, 0xbf7ee86f, v58
	v_add_f32_e32 v62, v62, v68
	v_fma_f32 v68, 0x3f6eb680, v53, -v73
	v_add_f32_e32 v69, v3, v69
	v_fmamk_f32 v73, v45, 0x3dbcf732, v70
	v_mul_f32_e32 v74, 0xbf4c4adb, v48
	v_add_f32_e32 v66, v67, v66
	v_fmamk_f32 v67, v56, 0x3dbcf732, v71
	v_add_f32_e32 v62, v68, v62
	v_fma_f32 v68, 0x3dbcf732, v56, -v71
	v_fma_f32 v65, 0x3f3d2fb0, v43, -v65
	v_add_f32_e32 v69, v69, v73
	v_fmamk_f32 v71, v47, 0xbf1a4643, v74
	v_mul_f32_e32 v73, 0xbe3c28d5, v50
	v_add_f32_e32 v62, v62, v68
	v_add_f32_e32 v65, v3, v65
	v_fma_f32 v68, 0x3dbcf732, v45, -v70
	v_add_f32_e32 v69, v69, v71
	v_fmamk_f32 v70, v49, 0xbf7ba420, v73
	v_add_f32_e32 v66, v66, v67
	v_mul_f32_e32 v67, 0xbf06c442, v60
	v_add_f32_e32 v65, v65, v68
	v_fma_f32 v68, 0xbf1a4643, v47, -v74
	v_add_f32_e32 v69, v69, v70
	v_add_f32_e32 v70, v3, v13
	v_fmamk_f32 v72, v59, 0xbf59a7d5, v67
	v_fma_f32 v67, 0xbf59a7d5, v59, -v67
	v_add_f32_e32 v65, v65, v68
	v_fma_f32 v68, 0xbf7ba420, v49, -v73
	v_add_f32_e32 v70, v70, v9
	v_mul_f32_e32 v71, 0x3f06c442, v52
	v_add_f32_e32 v62, v67, v62
	v_mul_f32_e32 v75, 0x3f763a35, v54
	v_add_f32_e32 v65, v65, v68
	v_add_f32_e32 v68, v70, v5
	v_fmamk_f32 v74, v51, 0xbf59a7d5, v71
	v_fma_f32 v70, 0xbf59a7d5, v51, -v71
	v_fmamk_f32 v73, v53, 0xbe8c1d8e, v75
	v_mul_f32_e32 v44, 0xbeb8f4ab, v44
	v_add_f32_e32 v67, v68, v19
	v_add_f32_e32 v69, v69, v74
	v_mul_f32_e32 v74, 0x3f65296c, v58
	v_add_f32_e32 v65, v65, v70
	v_fma_f32 v68, 0xbe8c1d8e, v53, -v75
	v_add_f32_e32 v67, v67, v17
	v_add_f32_e32 v69, v73, v69
	v_fma_f32 v73, 0x3f6eb680, v43, -v44
	v_fmamk_f32 v43, v43, 0x3f6eb680, v44
	v_add_f32_e32 v65, v68, v65
	v_add_f32_e32 v67, v67, v11
	v_fma_f32 v68, 0x3ee437d1, v56, -v74
	v_mul_f32_e32 v46, 0xbf2c7751, v46
	v_mul_f32_e32 v48, 0xbf65296c, v48
	;; [unrolled: 1-line block ×3, first 2 shown]
	v_add_f32_e32 v44, v67, v7
	v_add_f32_e32 v67, v3, v73
	;; [unrolled: 1-line block ×4, first 2 shown]
	v_fma_f32 v68, 0x3f3d2fb0, v45, -v46
	v_add_f32_e32 v43, v44, v37
	v_fmamk_f32 v44, v45, 0x3f3d2fb0, v46
	v_fma_f32 v46, 0x3ee437d1, v47, -v48
	v_mul_f32_e32 v70, 0x3eb8f4ab, v60
	v_add_f32_e32 v45, v67, v68
	v_add_f32_e32 v43, v43, v23
	;; [unrolled: 1-line block ×3, first 2 shown]
	v_fmamk_f32 v44, v47, 0x3ee437d1, v48
	v_mul_f32_e32 v47, 0xbf763a35, v52
	v_add_f32_e32 v45, v45, v46
	v_add_f32_e32 v43, v43, v27
	v_fma_f32 v46, 0x3dbcf732, v49, -v50
	v_add_f32_e32 v3, v3, v44
	v_fmamk_f32 v44, v49, 0x3dbcf732, v50
	v_mul_f32_e32 v48, 0xbf4c4adb, v54
	v_add_f32_e32 v43, v21, v43
	v_add_f32_e32 v45, v45, v46
	v_fma_f32 v46, 0xbe8c1d8e, v51, -v47
	v_add_f32_e32 v3, v3, v44
	v_fmamk_f32 v44, v51, 0xbe8c1d8e, v47
	v_add_f32_e32 v43, v39, v43
	v_mul_f32_e32 v47, 0xbf06c442, v58
	v_add_f32_e32 v45, v45, v46
	v_fma_f32 v46, 0xbf1a4643, v53, -v48
	v_add_f32_e32 v3, v3, v44
	v_add_f32_e32 v43, v35, v43
	v_fmamk_f32 v44, v53, 0xbf1a4643, v48
	v_mul_f32_e32 v48, 0xbe3c28d5, v60
	v_add_f32_e32 v45, v46, v45
	v_fma_f32 v46, 0xbf59a7d5, v56, -v47
	v_add_f32_e32 v43, v33, v43
	v_fmamk_f32 v71, v56, 0x3ee437d1, v74
	v_add_f32_e32 v3, v44, v3
	v_fmamk_f32 v44, v56, 0xbf59a7d5, v47
	v_add_f32_e32 v45, v45, v46
	v_fma_f32 v46, 0xbf7ba420, v59, -v48
	v_add_f32_e32 v43, v29, v43
	v_fma_f32 v47, 0x3f6eb680, v59, -v70
	v_add_f32_e32 v69, v69, v71
	v_fmamk_f32 v71, v59, 0x3f6eb680, v70
	v_add_f32_e32 v3, v3, v44
	v_fmamk_f32 v44, v59, 0xbf7ba420, v48
	v_add_f32_e32 v45, v46, v45
	v_add_f32_e32 v43, v25, v43
	v_mad_u32_u24 v46, 0x44, v0, 0
	v_add_f32_e32 v47, v47, v65
	v_add_f32_e32 v48, v72, v66
	;; [unrolled: 1-line block ×4, first 2 shown]
	ds_write2_b32 v46, v43, v45 offset1:1
	ds_write2_b32 v46, v47, v62 offset0:2 offset1:3
	ds_write2_b32 v46, v63, v61 offset0:4 offset1:5
	;; [unrolled: 1-line block ×7, first 2 shown]
	ds_write_b32 v46, v3 offset:64
.LBB0_15:
	s_or_b32 exec_lo, exec_lo, s0
	v_lshl_add_u32 v56, v0, 2, 0
	s_waitcnt lgkmcnt(0)
	s_barrier
	buffer_gl0_inv
	v_cmp_gt_u32_e64 s0, 0x66, v0
	v_add_nc_u32_e32 v3, 0x680, v56
	v_add_nc_u32_e32 v45, 0xd80, v56
	ds_read2_b32 v[43:44], v56 offset1:221
	ds_read2_b32 v[47:48], v3 offset0:26 offset1:247
	ds_read2_b32 v[45:46], v45 offset0:20 offset1:241
	ds_read_b32 v58, v56 offset:5304
	s_and_saveexec_b32 s4, s0
	s_cbranch_execz .LBB0_17
; %bb.16:
	v_add_nc_u32_e32 v3, 0x180, v56
	v_add_nc_u32_e32 v15, 0x880, v56
	;; [unrolled: 1-line block ×3, first 2 shown]
	ds_read2_b32 v[31:32], v3 offset0:23 offset1:244
	ds_read2_b32 v[41:42], v15 offset0:17 offset1:238
	;; [unrolled: 1-line block ×3, first 2 shown]
	ds_read_b32 v57, v56 offset:5780
.LBB0_17:
	s_or_b32 exec_lo, exec_lo, s4
	v_sub_f32_e32 v81, v13, v25
	v_add_f32_e32 v3, v14, v26
	v_sub_f32_e32 v82, v9, v29
	v_add_f32_e32 v79, v10, v30
	v_sub_f32_e32 v71, v5, v33
	v_mul_f32_e32 v76, 0xbf7ee86f, v81
	v_mul_f32_e32 v77, 0xbf763a35, v81
	;; [unrolled: 1-line block ×5, first 2 shown]
	v_fma_f32 v25, 0x3dbcf732, v3, -v76
	v_fma_f32 v29, 0xbe8c1d8e, v3, -v77
	v_mul_f32_e32 v59, 0x3f06c442, v82
	v_mul_f32_e32 v13, 0xbe3c28d5, v81
	v_fma_f32 v49, 0xbf1a4643, v3, -v78
	v_fmamk_f32 v50, v3, 0xbf59a7d5, v9
	v_add_f32_e32 v25, v4, v25
	v_add_f32_e32 v29, v4, v29
	v_fma_f32 v52, 0xbf7ba420, v79, -v80
	v_mul_f32_e32 v60, 0x3f763a35, v82
	v_fma_f32 v53, 0xbf59a7d5, v79, -v59
	v_mul_f32_e32 v54, 0x3f65296c, v82
	v_fma_f32 v9, 0xbf59a7d5, v3, -v9
	v_add_f32_e32 v49, v4, v49
	v_add_f32_e32 v50, v4, v50
	v_fmamk_f32 v51, v3, 0xbf7ba420, v13
	v_add_f32_e32 v52, v25, v52
	v_fma_f32 v25, 0xbe8c1d8e, v79, -v60
	v_add_f32_e32 v53, v29, v53
	v_fmamk_f32 v29, v79, 0x3ee437d1, v54
	v_mul_f32_e32 v61, 0x3eb8f4ab, v82
	v_add_f32_e32 v9, v4, v9
	v_add_f32_e32 v51, v4, v51
	v_fma_f32 v13, 0xbf7ba420, v3, -v13
	v_fma_f32 v54, 0x3ee437d1, v79, -v54
	v_add_f32_e32 v49, v49, v25
	v_add_f32_e32 v5, v50, v29
	v_fmamk_f32 v29, v79, 0x3f6eb680, v61
	v_add_f32_e32 v65, v6, v34
	v_mul_f32_e32 v25, 0x3f763a35, v71
	v_mul_f32_e32 v33, 0x3f2c7751, v71
	v_add_f32_e32 v13, v4, v13
	v_add_f32_e32 v9, v9, v54
	v_add_f32_e32 v50, v51, v29
	v_fma_f32 v51, 0x3f6eb680, v79, -v61
	v_mul_f32_e32 v29, 0xbeb8f4ab, v71
	v_fma_f32 v54, 0xbe8c1d8e, v65, -v25
	v_fma_f32 v61, 0x3f3d2fb0, v65, -v33
	v_mul_f32_e32 v62, 0xbf7ee86f, v71
	v_add_f32_e32 v51, v13, v51
	v_fma_f32 v13, 0x3f6eb680, v65, -v29
	v_add_f32_e32 v52, v52, v54
	v_add_f32_e32 v53, v53, v61
	v_fmamk_f32 v54, v65, 0x3dbcf732, v62
	v_mul_f32_e32 v61, 0xbf06c442, v71
	v_sub_f32_e32 v69, v19, v35
	v_add_f32_e32 v49, v49, v13
	v_fma_f32 v19, 0x3dbcf732, v65, -v62
	v_add_f32_e32 v5, v5, v54
	v_fmamk_f32 v54, v65, 0xbf59a7d5, v61
	v_add_f32_e32 v63, v20, v36
	v_mul_f32_e32 v13, 0x3eb8f4ab, v69
	v_mul_f32_e32 v35, 0xbf65296c, v69
	v_add_f32_e32 v9, v9, v19
	v_add_f32_e32 v19, v50, v54
	v_fma_f32 v50, 0xbf59a7d5, v65, -v61
	v_fma_f32 v54, 0x3f6eb680, v63, -v13
	v_mul_f32_e32 v61, 0xbf06c442, v69
	v_fma_f32 v62, 0x3ee437d1, v63, -v35
	v_mul_f32_e32 v64, 0x3f4c4adb, v69
	v_add_f32_e32 v50, v51, v50
	v_add_f32_e32 v51, v52, v54
	v_fma_f32 v52, 0xbf59a7d5, v63, -v61
	v_add_f32_e32 v53, v53, v62
	v_mul_f32_e32 v62, 0x3f2c7751, v69
	v_sub_f32_e32 v72, v17, v39
	v_fmamk_f32 v54, v63, 0xbf1a4643, v64
	v_fma_f32 v64, 0xbf1a4643, v63, -v64
	v_add_f32_e32 v49, v49, v52
	v_fmamk_f32 v52, v63, 0x3f3d2fb0, v62
	v_add_f32_e32 v66, v18, v40
	v_mul_f32_e32 v39, 0xbe3c28d5, v72
	v_mul_f32_e32 v67, 0xbeb8f4ab, v72
	v_add_f32_e32 v5, v5, v54
	v_add_f32_e32 v9, v9, v64
	v_mul_f32_e32 v17, 0xbf65296c, v72
	v_add_f32_e32 v52, v19, v52
	v_fma_f32 v54, 0x3f3d2fb0, v63, -v62
	v_mul_f32_e32 v19, 0x3f7ee86f, v72
	v_fma_f32 v64, 0xbf7ba420, v66, -v39
	v_sub_f32_e32 v70, v11, v21
	v_fma_f32 v21, 0x3f6eb680, v66, -v67
	v_fma_f32 v62, 0x3ee437d1, v66, -v17
	v_add_f32_e32 v50, v50, v54
	v_fma_f32 v54, 0x3dbcf732, v66, -v19
	v_add_f32_e32 v53, v53, v64
	v_mul_f32_e32 v68, 0xbf4c4adb, v72
	v_add_f32_e32 v64, v12, v22
	v_add_f32_e32 v9, v9, v21
	v_mul_f32_e32 v21, 0x3f7ee86f, v70
	v_add_f32_e32 v51, v51, v62
	v_fmamk_f32 v62, v66, 0x3f6eb680, v67
	v_add_f32_e32 v49, v49, v54
	v_fmamk_f32 v54, v66, 0xbf1a4643, v68
	v_fma_f32 v67, 0xbf1a4643, v66, -v68
	v_fma_f32 v68, 0x3dbcf732, v64, -v21
	v_mul_f32_e32 v11, 0xbf06c442, v70
	v_add_f32_e32 v5, v5, v62
	v_add_f32_e32 v52, v52, v54
	;; [unrolled: 1-line block ×3, first 2 shown]
	v_mul_f32_e32 v67, 0xbe3c28d5, v70
	v_add_f32_e32 v53, v68, v53
	v_mul_f32_e32 v68, 0x3f65296c, v70
	v_fma_f32 v54, 0xbf59a7d5, v64, -v11
	v_mul_f32_e32 v62, 0xbf2c7751, v70
	v_fmamk_f32 v74, v64, 0xbf7ba420, v67
	v_fma_f32 v67, 0xbf7ba420, v64, -v67
	v_sub_f32_e32 v73, v7, v27
	v_fmamk_f32 v27, v64, 0x3ee437d1, v68
	v_add_f32_e32 v51, v54, v51
	v_fma_f32 v54, 0x3f3d2fb0, v64, -v62
	v_add_f32_e32 v9, v67, v9
	v_add_f32_e32 v67, v8, v28
	v_mul_f32_e32 v7, 0x3f4c4adb, v73
	v_add_f32_e32 v52, v27, v52
	v_mul_f32_e32 v27, 0xbeb8f4ab, v73
	v_add_f32_e32 v49, v54, v49
	v_add_f32_e32 v5, v74, v5
	v_fma_f32 v54, 0x3ee437d1, v64, -v68
	v_mul_f32_e32 v68, 0xbe3c28d5, v73
	v_fma_f32 v74, 0xbf1a4643, v67, -v7
	v_mul_f32_e32 v83, 0x3f2c7751, v73
	v_fma_f32 v75, 0x3f6eb680, v67, -v27
	v_add_f32_e32 v50, v54, v50
	v_fma_f32 v54, 0xbf7ba420, v67, -v68
	v_add_f32_e32 v51, v51, v74
	v_fmamk_f32 v74, v67, 0x3f3d2fb0, v83
	v_add_f32_e32 v53, v53, v75
	v_sub_f32_e32 v75, v37, v23
	v_mul_f32_e32 v84, 0xbf763a35, v73
	v_add_f32_e32 v49, v49, v54
	v_add_f32_e32 v54, v5, v74
	v_fma_f32 v74, 0x3f3d2fb0, v67, -v83
	v_add_f32_e32 v5, v38, v24
	v_mul_f32_e32 v23, 0x3f2c7751, v75
	v_fmamk_f32 v83, v67, 0xbe8c1d8e, v84
	v_fma_f32 v84, 0xbe8c1d8e, v67, -v84
	v_mul_f32_e32 v37, 0xbf4c4adb, v75
	v_add_f32_e32 v85, v9, v74
	v_fma_f32 v9, 0x3f3d2fb0, v5, -v23
	v_mul_f32_e32 v74, 0x3f65296c, v75
	v_add_f32_e32 v84, v50, v84
	;; [unrolled: 3-line block ×3, first 2 shown]
	v_mul_f32_e32 v51, 0x3f7ee86f, v75
	v_add_f32_e32 v83, v52, v83
	v_add_f32_e32 v52, v50, v53
	v_fma_f32 v50, 0x3ee437d1, v5, -v74
	v_fmamk_f32 v53, v5, 0xbe8c1d8e, v86
	v_fma_f32 v86, 0xbe8c1d8e, v5, -v86
	v_fmamk_f32 v87, v5, 0x3dbcf732, v51
	v_fma_f32 v88, 0x3dbcf732, v5, -v51
	v_add_f32_e32 v51, v50, v49
	v_add_f32_e32 v49, v53, v54
	;; [unrolled: 1-line block ×5, first 2 shown]
	s_waitcnt lgkmcnt(0)
	s_barrier
	buffer_gl0_inv
	s_and_saveexec_b32 s4, s1
	s_cbranch_execz .LBB0_19
; %bb.18:
	v_add_f32_e32 v14, v4, v14
	v_mul_f32_e32 v99, 0xbeb8f4ab, v81
	v_mul_f32_e32 v101, 0xbf2c7751, v81
	v_mul_f32_e32 v83, 0x3dbcf732, v3
	v_mul_f32_e32 v84, 0xbe8c1d8e, v3
	v_add_f32_e32 v10, v14, v10
	v_mul_f32_e32 v85, 0xbf1a4643, v3
	v_fmamk_f32 v104, v3, 0x3f6eb680, v99
	v_fma_f32 v99, 0x3f6eb680, v3, -v99
	v_mul_f32_e32 v86, 0xbf7ba420, v79
	v_add_f32_e32 v6, v10, v6
	v_mul_f32_e32 v87, 0xbe8c1d8e, v79
	v_mul_f32_e32 v102, 0xbf2c7751, v82
	;; [unrolled: 1-line block ×4, first 2 shown]
	v_add_f32_e32 v6, v6, v20
	v_mul_f32_e32 v88, 0xbe8c1d8e, v65
	v_mul_f32_e32 v89, 0x3f3d2fb0, v65
	;; [unrolled: 1-line block ×3, first 2 shown]
	v_add_f32_e32 v14, v14, v59
	v_add_f32_e32 v6, v6, v18
	;; [unrolled: 1-line block ×5, first 2 shown]
	v_mul_f32_e32 v90, 0x3f6eb680, v63
	v_add_f32_e32 v6, v6, v12
	v_mul_f32_e32 v91, 0x3ee437d1, v63
	v_mul_f32_e32 v92, 0xbf59a7d5, v63
	;; [unrolled: 1-line block ×3, first 2 shown]
	v_add_f32_e32 v13, v90, v13
	v_add_f32_e32 v6, v6, v8
	v_mul_f32_e32 v8, 0xbf65296c, v81
	v_mul_f32_e32 v93, 0xbf7ba420, v66
	;; [unrolled: 1-line block ×3, first 2 shown]
	v_add_f32_e32 v17, v20, v17
	v_add_f32_e32 v6, v6, v38
	v_mul_f32_e32 v38, 0xbf4c4adb, v82
	v_fmamk_f32 v105, v3, 0x3ee437d1, v8
	v_add_f32_e32 v20, v93, v39
	v_add_f32_e32 v19, v94, v19
	;; [unrolled: 1-line block ×3, first 2 shown]
	v_fmamk_f32 v24, v3, 0x3f3d2fb0, v101
	v_fma_f32 v101, 0x3f3d2fb0, v3, -v101
	v_fma_f32 v3, 0x3ee437d1, v3, -v8
	v_add_f32_e32 v8, v83, v76
	v_add_f32_e32 v6, v6, v28
	;; [unrolled: 1-line block ×4, first 2 shown]
	v_fmamk_f32 v84, v79, 0xbf1a4643, v38
	v_fma_f32 v38, 0xbf1a4643, v79, -v38
	v_add_f32_e32 v6, v22, v6
	v_add_f32_e32 v3, v4, v3
	v_fmamk_f32 v77, v79, 0x3f3d2fb0, v102
	v_fma_f32 v22, 0x3f3d2fb0, v79, -v102
	v_fmamk_f32 v78, v79, 0x3dbcf732, v103
	v_add_f32_e32 v6, v40, v6
	v_fma_f32 v83, 0x3dbcf732, v79, -v103
	v_add_f32_e32 v40, v86, v80
	v_add_f32_e32 v79, v4, v104
	;; [unrolled: 1-line block ×19, first 2 shown]
	v_mul_f32_e32 v26, 0xbf65296c, v71
	v_mul_f32_e32 v38, 0x3e3c28d5, v71
	;; [unrolled: 1-line block ×3, first 2 shown]
	v_add_f32_e32 v34, v79, v77
	v_add_f32_e32 v30, v36, v83
	v_fmamk_f32 v40, v65, 0x3ee437d1, v26
	v_fma_f32 v26, 0x3ee437d1, v65, -v26
	v_fmamk_f32 v59, v65, 0xbf1a4643, v28
	v_fma_f32 v28, 0xbf1a4643, v65, -v28
	v_add_f32_e32 v8, v8, v25
	v_mul_f32_e32 v25, 0xbe3c28d5, v69
	v_add_f32_e32 v22, v22, v26
	v_fma_f32 v26, 0xbf7ba420, v65, -v38
	v_add_f32_e32 v36, v85, v84
	v_add_f32_e32 v34, v34, v40
	v_fmamk_f32 v40, v65, 0xbf7ba420, v38
	v_add_f32_e32 v28, v30, v28
	v_add_f32_e32 v3, v3, v26
	v_mul_f32_e32 v26, 0xbf7ee86f, v69
	v_add_f32_e32 v14, v14, v33
	v_add_f32_e32 v4, v4, v10
	v_mul_f32_e32 v10, 0x3f763a35, v69
	v_fmamk_f32 v33, v63, 0xbf7ba420, v25
	v_fmamk_f32 v29, v63, 0x3dbcf732, v26
	v_fma_f32 v25, 0xbf7ba420, v63, -v25
	v_add_f32_e32 v24, v24, v78
	v_add_f32_e32 v30, v36, v40
	v_fma_f32 v26, 0x3dbcf732, v63, -v26
	v_add_f32_e32 v29, v34, v29
	v_fmamk_f32 v34, v63, 0xbe8c1d8e, v10
	v_fma_f32 v10, 0xbe8c1d8e, v63, -v10
	v_add_f32_e32 v25, v28, v25
	v_add_f32_e32 v28, v91, v35
	;; [unrolled: 1-line block ×6, first 2 shown]
	v_mul_f32_e32 v10, 0xbf763a35, v72
	v_add_f32_e32 v30, v92, v61
	v_add_f32_e32 v8, v8, v13
	;; [unrolled: 1-line block ×3, first 2 shown]
	v_mul_f32_e32 v14, 0x3f06c442, v72
	v_add_f32_e32 v24, v24, v33
	v_fmamk_f32 v28, v66, 0xbe8c1d8e, v10
	v_add_f32_e32 v4, v4, v30
	v_mul_f32_e32 v30, 0x3f2c7751, v72
	v_fma_f32 v10, 0xbe8c1d8e, v66, -v10
	v_fmamk_f32 v33, v66, 0xbf59a7d5, v14
	v_add_f32_e32 v28, v29, v28
	v_add_f32_e32 v13, v13, v20
	;; [unrolled: 1-line block ×5, first 2 shown]
	v_fma_f32 v24, 0x3f3d2fb0, v66, -v30
	v_mul_f32_e32 v19, 0xbeb8f4ab, v70
	v_mul_f32_e32 v95, 0xbf59a7d5, v64
	v_mul_f32_e32 v18, 0x3dbcf732, v64
	v_mul_f32_e32 v96, 0x3f3d2fb0, v64
	v_add_f32_e32 v3, v3, v24
	v_mul_f32_e32 v24, 0xbf4c4adb, v70
	v_fma_f32 v14, 0xbf59a7d5, v66, -v14
	v_fmamk_f32 v29, v66, 0x3f3d2fb0, v30
	v_add_f32_e32 v8, v8, v17
	v_mul_f32_e32 v17, 0x3f763a35, v70
	v_fmamk_f32 v20, v64, 0xbf1a4643, v24
	v_fma_f32 v24, 0xbf1a4643, v64, -v24
	v_add_f32_e32 v11, v95, v11
	v_add_f32_e32 v18, v18, v21
	;; [unrolled: 1-line block ×4, first 2 shown]
	v_fmamk_f32 v28, v64, 0x3f6eb680, v19
	v_fma_f32 v19, 0x3f6eb680, v64, -v19
	v_add_f32_e32 v14, v25, v14
	v_add_f32_e32 v25, v26, v29
	v_fmamk_f32 v26, v64, 0xbe8c1d8e, v17
	v_fma_f32 v17, 0xbe8c1d8e, v64, -v17
	v_add_f32_e32 v3, v19, v3
	v_mul_f32_e32 v19, 0xbf06c442, v73
	v_add_f32_e32 v10, v24, v10
	v_add_f32_e32 v8, v11, v8
	;; [unrolled: 1-line block ×3, first 2 shown]
	v_mul_f32_e32 v13, 0x3f65296c, v73
	v_fmamk_f32 v18, v67, 0xbf59a7d5, v19
	v_add_f32_e32 v4, v21, v4
	v_fma_f32 v19, 0xbf59a7d5, v67, -v19
	v_mul_f32_e32 v21, 0xbf7ee86f, v73
	v_mul_f32_e32 v97, 0xbf1a4643, v67
	;; [unrolled: 1-line block ×3, first 2 shown]
	v_add_f32_e32 v14, v17, v14
	v_add_f32_e32 v17, v28, v25
	v_fmamk_f32 v24, v67, 0x3ee437d1, v13
	v_fma_f32 v13, 0x3ee437d1, v67, -v13
	v_add_f32_e32 v10, v10, v19
	v_fmamk_f32 v19, v67, 0x3dbcf732, v21
	v_mul_f32_e32 v12, 0xbf7ba420, v67
	v_add_f32_e32 v7, v97, v7
	v_add_f32_e32 v13, v14, v13
	v_fma_f32 v21, 0x3dbcf732, v67, -v21
	v_add_f32_e32 v14, v17, v19
	v_add_f32_e32 v17, v98, v27
	;; [unrolled: 1-line block ×4, first 2 shown]
	v_mul_f32_e32 v8, 0xbe3c28d5, v75
	v_add_f32_e32 v22, v26, v22
	v_add_f32_e32 v11, v11, v17
	v_mul_f32_e32 v17, 0x3eb8f4ab, v75
	v_add_f32_e32 v4, v4, v12
	v_mul_f32_e32 v12, 0xbf06c442, v75
	v_mul_f32_e32 v100, 0x3f3d2fb0, v5
	;; [unrolled: 1-line block ×3, first 2 shown]
	v_add_f32_e32 v18, v20, v18
	v_add_f32_e32 v3, v3, v21
	v_fmamk_f32 v19, v5, 0xbf7ba420, v8
	v_fmamk_f32 v21, v5, 0x3f6eb680, v17
	v_fma_f32 v17, 0x3f6eb680, v5, -v17
	v_mul_f32_e32 v82, 0x3ee437d1, v5
	v_add_f32_e32 v20, v22, v24
	v_fma_f32 v8, 0xbf7ba420, v5, -v8
	v_fmamk_f32 v22, v5, 0xbf59a7d5, v12
	v_add_f32_e32 v18, v19, v18
	v_add_f32_e32 v13, v17, v13
	;; [unrolled: 1-line block ×7, first 2 shown]
	v_fma_f32 v5, 0xbf59a7d5, v5, -v12
	v_lshl_add_u32 v12, v0, 6, v56
	v_add_f32_e32 v14, v22, v14
	v_add_f32_e32 v7, v17, v7
	;; [unrolled: 1-line block ×5, first 2 shown]
	ds_write2_b32 v12, v6, v18 offset1:1
	ds_write2_b32 v12, v10, v14 offset0:2 offset1:3
	ds_write2_b32 v12, v7, v11 offset0:4 offset1:5
	;; [unrolled: 1-line block ×7, first 2 shown]
	ds_write_b32 v12, v8 offset:64
.LBB0_19:
	s_or_b32 exec_lo, exec_lo, s4
	v_add_nc_u32_e32 v5, 0x680, v56
	v_add_nc_u32_e32 v6, 0xd80, v56
	s_waitcnt lgkmcnt(0)
	s_barrier
	buffer_gl0_inv
	ds_read2_b32 v[3:4], v56 offset1:221
	ds_read2_b32 v[7:8], v5 offset0:26 offset1:247
	ds_read2_b32 v[5:6], v6 offset0:20 offset1:241
	ds_read_b32 v10, v56 offset:5304
	s_and_saveexec_b32 s1, s0
	s_cbranch_execz .LBB0_21
; %bb.20:
	v_add_nc_u32_e32 v9, 0x180, v56
	v_add_nc_u32_e32 v11, 0x880, v56
	;; [unrolled: 1-line block ×3, first 2 shown]
	ds_read2_b32 v[49:50], v9 offset0:23 offset1:244
	ds_read2_b32 v[53:54], v11 offset0:17 offset1:238
	;; [unrolled: 1-line block ×3, first 2 shown]
	ds_read_b32 v9, v56 offset:5780
.LBB0_21:
	s_or_b32 exec_lo, exec_lo, s1
	v_and_b32_e32 v11, 0xff, v0
	v_add_nc_u16 v14, v0, 0x77
	v_mov_b32_e32 v13, 6
	v_mov_b32_e32 v23, 0x1dc
	v_mov_b32_e32 v34, 2
	v_mul_lo_u16 v11, 0xf1, v11
	v_and_b32_e32 v17, 0xff, v14
	v_lshrrev_b16 v11, 12, v11
	v_mul_lo_u16 v17, 0xf1, v17
	v_mul_lo_u16 v12, v11, 17
	v_lshrrev_b16 v17, 12, v17
	v_mul_u32_u24_sdwa v11, v11, v23 dst_sel:DWORD dst_unused:UNUSED_PAD src0_sel:WORD_0 src1_sel:DWORD
	v_sub_nc_u16 v12, v0, v12
	v_mul_lo_u16 v19, v17, 17
	v_mul_u32_u24_sdwa v18, v12, v13 dst_sel:DWORD dst_unused:UNUSED_PAD src0_sel:BYTE_0 src1_sel:DWORD
	v_lshlrev_b32_sdwa v12, v34, v12 dst_sel:DWORD dst_unused:UNUSED_PAD src0_sel:DWORD src1_sel:BYTE_0
	v_lshlrev_b32_e32 v18, 3, v18
	s_clause 0x2
	global_load_dwordx4 v[24:27], v18, s[8:9]
	global_load_dwordx4 v[37:40], v18, s[8:9] offset:16
	global_load_dwordx4 v[59:62], v18, s[8:9] offset:32
	v_sub_nc_u16 v18, v14, v19
	v_add3_u32 v19, 0, v11, v12
	v_mul_u32_u24_sdwa v13, v18, v13 dst_sel:DWORD dst_unused:UNUSED_PAD src0_sel:BYTE_0 src1_sel:DWORD
	v_lshlrev_b32_e32 v13, 3, v13
	s_clause 0x2
	global_load_dwordx4 v[63:66], v13, s[8:9]
	global_load_dwordx4 v[67:70], v13, s[8:9] offset:16
	global_load_dwordx4 v[71:74], v13, s[8:9] offset:32
	s_waitcnt vmcnt(0) lgkmcnt(0)
	s_barrier
	buffer_gl0_inv
	v_mul_f32_e32 v20, v4, v25
	v_mul_f32_e32 v12, v44, v25
	;; [unrolled: 1-line block ×12, first 2 shown]
	v_fma_f32 v35, v44, v24, -v20
	v_fmac_f32_e32 v12, v4, v24
	v_fma_f32 v4, v47, v26, -v21
	v_fmac_f32_e32 v13, v7, v26
	;; [unrolled: 2-line block ×3, first 2 shown]
	v_fma_f32 v37, v46, v59, -v27
	v_fma_f32 v38, v58, v61, -v28
	v_fmac_f32_e32 v36, v10, v61
	v_mul_f32_e32 v10, v50, v64
	v_mul_f32_e32 v27, v51, v70
	v_fma_f32 v8, v45, v39, -v25
	v_fmac_f32_e32 v14, v5, v39
	v_fmac_f32_e32 v33, v6, v59
	v_mul_f32_e32 v24, v53, v66
	v_mul_f32_e32 v21, v15, v70
	v_fma_f32 v25, v32, v63, -v10
	v_fma_f32 v27, v15, v69, -v27
	v_add_f32_e32 v10, v35, v38
	v_add_f32_e32 v15, v4, v37
	v_mul_f32_e32 v29, v52, v72
	v_mul_f32_e32 v6, v32, v64
	;; [unrolled: 1-line block ×4, first 2 shown]
	v_fma_f32 v24, v41, v65, -v24
	v_add_f32_e32 v32, v7, v8
	v_sub_f32_e32 v39, v13, v33
	v_sub_f32_e32 v40, v14, v11
	v_add_f32_e32 v41, v15, v10
	v_mul_f32_e32 v22, v16, v72
	v_fma_f32 v29, v16, v71, -v29
	v_sub_f32_e32 v16, v12, v36
	v_mul_f32_e32 v5, v42, v68
	v_fma_f32 v26, v42, v67, -v26
	v_sub_f32_e32 v42, v15, v10
	v_sub_f32_e32 v10, v10, v32
	;; [unrolled: 1-line block ×3, first 2 shown]
	v_add_f32_e32 v44, v40, v39
	v_sub_f32_e32 v45, v40, v39
	v_add_f32_e32 v32, v32, v41
	v_sub_f32_e32 v39, v39, v16
	v_sub_f32_e32 v40, v16, v40
	v_add_f32_e32 v16, v44, v16
	v_mul_f32_e32 v10, 0x3f4a47b2, v10
	v_mul_f32_e32 v44, 0xbf08b237, v45
	v_add_f32_e32 v43, v43, v32
	v_mul_f32_e32 v41, 0x3d64c772, v15
	v_mul_f32_e32 v45, 0x3f5ff5aa, v39
	v_fmamk_f32 v15, v15, 0x3d64c772, v10
	v_fmamk_f32 v46, v40, 0x3eae86e6, v44
	;; [unrolled: 1-line block ×3, first 2 shown]
	v_fma_f32 v41, 0x3f3bfb3b, v42, -v41
	v_fma_f32 v39, 0x3f5ff5aa, v39, -v44
	;; [unrolled: 1-line block ×4, first 2 shown]
	v_mul_f32_e32 v30, v9, v74
	v_mul_f32_e32 v28, v57, v74
	v_fmac_f32_e32 v46, 0x3ee1c552, v16
	v_add_f32_e32 v15, v15, v32
	v_fmac_f32_e32 v39, 0x3ee1c552, v16
	v_fmac_f32_e32 v40, 0x3ee1c552, v16
	v_add_f32_e32 v10, v10, v32
	v_add_f32_e32 v16, v41, v32
	v_fmac_f32_e32 v6, v50, v63
	v_fmac_f32_e32 v20, v53, v65
	;; [unrolled: 1-line block ×5, first 2 shown]
	v_fma_f32 v30, v57, v73, -v30
	v_add_f32_e32 v32, v46, v15
	v_fmac_f32_e32 v28, v9, v73
	v_add_f32_e32 v41, v40, v10
	v_sub_f32_e32 v42, v16, v39
	v_add_f32_e32 v16, v39, v16
	v_sub_f32_e32 v10, v10, v40
	v_sub_f32_e32 v15, v15, v46
	ds_write2_b32 v19, v43, v32 offset1:17
	ds_write2_b32 v19, v41, v42 offset0:34 offset1:51
	ds_write2_b32 v19, v16, v10 offset0:68 offset1:85
	ds_write_b32 v19, v15 offset:408
	s_and_saveexec_b32 s1, s0
	s_cbranch_execz .LBB0_23
; %bb.22:
	v_add_f32_e32 v9, v25, v30
	v_add_f32_e32 v10, v24, v29
	;; [unrolled: 1-line block ×3, first 2 shown]
	v_sub_f32_e32 v16, v6, v28
	v_sub_f32_e32 v32, v21, v5
	;; [unrolled: 1-line block ×3, first 2 shown]
	v_add_f32_e32 v39, v10, v9
	v_sub_f32_e32 v41, v9, v15
	v_sub_f32_e32 v42, v15, v10
	v_sub_f32_e32 v43, v16, v32
	v_sub_f32_e32 v9, v10, v9
	v_add_f32_e32 v15, v15, v39
	v_sub_f32_e32 v39, v32, v40
	v_add_f32_e32 v32, v32, v40
	v_sub_f32_e32 v40, v40, v16
	v_mul_f32_e32 v10, 0x3f4a47b2, v41
	v_add_f32_e32 v31, v31, v15
	v_mul_f32_e32 v41, 0x3d64c772, v42
	v_mul_f32_e32 v39, 0xbf08b237, v39
	;; [unrolled: 1-line block ×3, first 2 shown]
	v_fmamk_f32 v42, v42, 0x3d64c772, v10
	v_fmamk_f32 v15, v15, 0xbf955555, v31
	v_add_f32_e32 v16, v32, v16
	v_fmamk_f32 v32, v43, 0x3eae86e6, v39
	v_fma_f32 v10, 0xbf3bfb3b, v9, -v10
	v_fma_f32 v43, 0xbeae86e6, v43, -v44
	;; [unrolled: 1-line block ×4, first 2 shown]
	v_add_f32_e32 v42, v42, v15
	v_fmac_f32_e32 v32, 0x3ee1c552, v16
	v_add_f32_e32 v10, v10, v15
	v_fmac_f32_e32 v43, 0x3ee1c552, v16
	v_fmac_f32_e32 v39, 0x3ee1c552, v16
	v_add_f32_e32 v9, v9, v15
	v_mul_u32_u24_sdwa v15, v17, v23 dst_sel:DWORD dst_unused:UNUSED_PAD src0_sel:WORD_0 src1_sel:DWORD
	v_lshlrev_b32_sdwa v16, v34, v18 dst_sel:DWORD dst_unused:UNUSED_PAD src0_sel:DWORD src1_sel:BYTE_0
	v_add_f32_e32 v40, v32, v42
	v_sub_f32_e32 v23, v10, v43
	v_sub_f32_e32 v34, v9, v39
	v_add_f32_e32 v10, v43, v10
	v_add3_u32 v15, 0, v15, v16
	v_add_f32_e32 v9, v39, v9
	v_sub_f32_e32 v16, v42, v32
	ds_write2_b32 v15, v31, v40 offset1:17
	ds_write2_b32 v15, v10, v34 offset0:34 offset1:51
	ds_write2_b32 v15, v9, v23 offset0:68 offset1:85
	ds_write_b32 v15, v16 offset:408
.LBB0_23:
	s_or_b32 exec_lo, exec_lo, s1
	v_add_f32_e32 v9, v12, v36
	v_add_f32_e32 v10, v13, v33
	;; [unrolled: 1-line block ×3, first 2 shown]
	v_sub_f32_e32 v7, v8, v7
	v_sub_f32_e32 v12, v35, v38
	v_sub_f32_e32 v4, v4, v37
	v_add_f32_e32 v8, v10, v9
	v_sub_f32_e32 v13, v10, v9
	v_sub_f32_e32 v9, v9, v11
	;; [unrolled: 1-line block ×3, first 2 shown]
	v_add_f32_e32 v14, v7, v4
	v_add_f32_e32 v8, v11, v8
	v_sub_f32_e32 v11, v7, v4
	v_sub_f32_e32 v4, v4, v12
	;; [unrolled: 1-line block ×3, first 2 shown]
	v_add_f32_e32 v31, v14, v12
	v_add_f32_e32 v32, v3, v8
	v_mul_f32_e32 v3, 0x3f4a47b2, v9
	v_mul_f32_e32 v9, 0x3d64c772, v10
	;; [unrolled: 1-line block ×4, first 2 shown]
	v_fmamk_f32 v33, v8, 0xbf955555, v32
	v_fmamk_f32 v8, v10, 0x3d64c772, v3
	v_fma_f32 v9, 0x3f3bfb3b, v13, -v9
	v_fmamk_f32 v35, v7, 0x3eae86e6, v11
	v_fma_f32 v37, 0xbeae86e6, v7, -v12
	v_add_nc_u32_e32 v7, 0x200, v56
	v_add_f32_e32 v38, v8, v33
	v_add_nc_u32_e32 v8, 0x600, v56
	v_fma_f32 v36, 0x3f5ff5aa, v4, -v11
	v_add_nc_u32_e32 v11, 0xa00, v56
	v_add_nc_u32_e32 v12, 0xe00, v56
	;; [unrolled: 1-line block ×3, first 2 shown]
	v_fma_f32 v34, 0xbf3bfb3b, v13, -v3
	v_add_f32_e32 v39, v9, v33
	s_waitcnt lgkmcnt(0)
	s_barrier
	buffer_gl0_inv
	ds_read2_b32 v[3:4], v56 offset1:119
	ds_read2_b32 v[13:14], v7 offset0:110 offset1:229
	ds_read2_b32 v[9:10], v8 offset0:92 offset1:211
	;; [unrolled: 1-line block ×5, first 2 shown]
	ds_read_b32 v23, v56 offset:5712
	v_fmac_f32_e32 v35, 0x3ee1c552, v31
	v_add_f32_e32 v33, v34, v33
	v_fmac_f32_e32 v37, 0x3ee1c552, v31
	v_fmac_f32_e32 v36, 0x3ee1c552, v31
	s_waitcnt lgkmcnt(0)
	v_sub_f32_e32 v31, v38, v35
	v_add_f32_e32 v35, v35, v38
	v_sub_f32_e32 v34, v33, v37
	v_add_f32_e32 v40, v36, v39
	;; [unrolled: 2-line block ×3, first 2 shown]
	s_barrier
	buffer_gl0_inv
	ds_write2_b32 v19, v32, v31 offset1:17
	ds_write2_b32 v19, v34, v40 offset0:34 offset1:51
	ds_write2_b32 v19, v36, v33 offset0:68 offset1:85
	ds_write_b32 v19, v35 offset:408
	s_and_saveexec_b32 s1, s0
	s_cbranch_execz .LBB0_25
; %bb.24:
	v_add_f32_e32 v6, v6, v28
	v_add_f32_e32 v19, v20, v22
	;; [unrolled: 1-line block ×3, first 2 shown]
	v_sub_f32_e32 v21, v24, v29
	v_sub_f32_e32 v22, v27, v26
	;; [unrolled: 1-line block ×3, first 2 shown]
	v_add_f32_e32 v24, v19, v6
	v_sub_f32_e32 v25, v19, v6
	v_sub_f32_e32 v6, v6, v5
	;; [unrolled: 1-line block ×3, first 2 shown]
	v_add_f32_e32 v26, v22, v21
	v_add_f32_e32 v5, v5, v24
	v_sub_f32_e32 v24, v22, v21
	v_sub_f32_e32 v22, v20, v22
	;; [unrolled: 1-line block ×3, first 2 shown]
	v_add_f32_e32 v20, v26, v20
	v_add_f32_e32 v26, v49, v5
	v_mul_f32_e32 v6, 0x3f4a47b2, v6
	v_mul_f32_e32 v27, 0x3d64c772, v19
	;; [unrolled: 1-line block ×4, first 2 shown]
	v_fmamk_f32 v5, v5, 0xbf955555, v26
	v_fmamk_f32 v19, v19, 0x3d64c772, v6
	v_fma_f32 v27, 0x3f3bfb3b, v25, -v27
	v_fma_f32 v6, 0xbf3bfb3b, v25, -v6
	v_fmamk_f32 v25, v22, 0x3eae86e6, v24
	v_fma_f32 v21, 0x3f5ff5aa, v21, -v24
	v_add_f32_e32 v19, v19, v5
	v_add_f32_e32 v24, v27, v5
	;; [unrolled: 1-line block ×3, first 2 shown]
	v_mov_b32_e32 v6, 0x1dc
	v_mov_b32_e32 v27, 2
	v_fma_f32 v22, 0xbeae86e6, v22, -v28
	v_fmac_f32_e32 v25, 0x3ee1c552, v20
	v_fmac_f32_e32 v21, 0x3ee1c552, v20
	v_mul_u32_u24_sdwa v6, v17, v6 dst_sel:DWORD dst_unused:UNUSED_PAD src0_sel:WORD_0 src1_sel:DWORD
	v_lshlrev_b32_sdwa v17, v27, v18 dst_sel:DWORD dst_unused:UNUSED_PAD src0_sel:DWORD src1_sel:BYTE_0
	v_fmac_f32_e32 v22, 0x3ee1c552, v20
	v_sub_f32_e32 v18, v19, v25
	v_add_f32_e32 v27, v21, v24
	v_add_f32_e32 v19, v25, v19
	v_add3_u32 v6, 0, v6, v17
	v_sub_f32_e32 v20, v5, v22
	v_sub_f32_e32 v17, v24, v21
	v_add_f32_e32 v5, v22, v5
	ds_write2_b32 v6, v26, v18 offset1:17
	ds_write2_b32 v6, v20, v27 offset0:34 offset1:51
	ds_write2_b32 v6, v17, v5 offset0:68 offset1:85
	ds_write_b32 v6, v19 offset:408
.LBB0_25:
	s_or_b32 exec_lo, exec_lo, s1
	s_waitcnt lgkmcnt(0)
	s_barrier
	buffer_gl0_inv
	s_and_saveexec_b32 s0, vcc_lo
	s_cbranch_execz .LBB0_27
; %bb.26:
	v_mul_u32_u24_e32 v0, 12, v0
	v_add_nc_u32_e32 v17, 0x1200, v56
	v_add_nc_u32_e32 v18, 0xa00, v56
	v_lshlrev_b64 v[1:2], 3, v[1:2]
	v_lshlrev_b32_e32 v0, 3, v0
	s_clause 0x5
	global_load_dwordx4 v[30:33], v0, s[8:9] offset:896
	global_load_dwordx4 v[34:37], v0, s[8:9] offset:816
	;; [unrolled: 1-line block ×6, first 2 shown]
	v_add_nc_u32_e32 v0, 0x200, v56
	ds_read2_b32 v[5:6], v56 offset1:119
	ds_read_b32 v19, v56 offset:5712
	ds_read2_b32 v[57:58], v0 offset0:110 offset1:229
	ds_read2_b32 v[59:60], v17 offset0:38 offset1:157
	v_add_nc_u32_e32 v0, 0x600, v56
	v_add_nc_u32_e32 v17, 0xe00, v56
	ds_read2_b32 v[61:62], v0 offset0:92 offset1:211
	ds_read2_b32 v[63:64], v17 offset0:56 offset1:175
	;; [unrolled: 1-line block ×3, first 2 shown]
	s_waitcnt vmcnt(5)
	v_mul_f32_e32 v17, v23, v33
	s_waitcnt vmcnt(4)
	v_mul_f32_e32 v54, v4, v35
	s_waitcnt lgkmcnt(6)
	v_mul_f32_e32 v0, v6, v35
	s_waitcnt lgkmcnt(5)
	v_mul_f32_e32 v25, v19, v33
	v_mul_f32_e32 v18, v16, v31
	v_mul_f32_e32 v56, v13, v37
	s_waitcnt lgkmcnt(4)
	v_mul_f32_e32 v33, v57, v37
	s_waitcnt vmcnt(3) lgkmcnt(3)
	v_mul_f32_e32 v37, v59, v41
	v_fmac_f32_e32 v17, v19, v32
	v_fmac_f32_e32 v54, v6, v34
	v_mul_f32_e32 v31, v60, v31
	v_mul_f32_e32 v20, v15, v41
	s_waitcnt vmcnt(2)
	v_mul_f32_e32 v29, v14, v43
	v_mul_f32_e32 v35, v58, v43
	;; [unrolled: 1-line block ×3, first 2 shown]
	s_waitcnt lgkmcnt(2)
	v_mul_f32_e32 v41, v61, v45
	s_waitcnt vmcnt(1)
	v_mul_f32_e32 v22, v11, v49
	s_waitcnt vmcnt(0)
	v_mul_f32_e32 v26, v10, v51
	v_mul_f32_e32 v43, v62, v51
	s_waitcnt lgkmcnt(1)
	v_mul_f32_e32 v45, v63, v49
	v_mul_f32_e32 v24, v8, v47
	s_waitcnt lgkmcnt(0)
	v_mul_f32_e32 v49, v65, v53
	v_mul_f32_e32 v47, v66, v47
	v_fma_f32 v51, v4, v34, -v0
	v_fma_f32 v19, v23, v32, -v25
	v_fmac_f32_e32 v18, v60, v30
	v_fmac_f32_e32 v56, v57, v36
	v_fma_f32 v23, v15, v40, -v37
	v_add_f32_e32 v15, v17, v54
	v_mul_f32_e32 v21, v12, v39
	v_mul_f32_e32 v28, v7, v53
	v_fma_f32 v36, v13, v36, -v33
	v_fma_f32 v16, v16, v30, -v31
	;; [unrolled: 1-line block ×3, first 2 shown]
	v_fmac_f32_e32 v27, v61, v44
	v_fma_f32 v34, v9, v44, -v41
	v_fmac_f32_e32 v26, v62, v50
	v_fma_f32 v33, v10, v50, -v43
	v_fma_f32 v32, v7, v52, -v49
	v_fma_f32 v31, v8, v46, -v47
	v_sub_f32_e32 v47, v51, v19
	v_add_f32_e32 v14, v18, v56
	v_sub_f32_e32 v44, v54, v17
	v_add_f32_e32 v49, v5, v54
	v_mul_f32_e32 v50, 0x3f116cb1, v15
	v_mul_f32_e32 v39, v64, v39
	v_fmac_f32_e32 v21, v64, v38
	v_fmac_f32_e32 v22, v63, v48
	v_fma_f32 v30, v11, v48, -v45
	v_fmac_f32_e32 v28, v65, v52
	v_sub_f32_e32 v48, v36, v16
	v_add_f32_e32 v13, v19, v51
	v_sub_f32_e32 v43, v56, v18
	v_add_f32_e32 v64, v3, v51
	v_mul_f32_e32 v51, 0xbeb58ec6, v14
	v_mul_f32_e32 v57, 0xbf52af12, v44
	;; [unrolled: 1-line block ×3, first 2 shown]
	v_add_f32_e32 v97, v49, v56
	v_fmamk_f32 v49, v47, 0x3f52af12, v50
	v_fmac_f32_e32 v29, v58, v42
	v_fmac_f32_e32 v24, v66, v46
	v_add_f32_e32 v11, v16, v36
	v_mul_f32_e32 v58, 0xbf6f5d39, v43
	v_mul_f32_e32 v66, 0xbf3f9e67, v14
	;; [unrolled: 1-line block ×4, first 2 shown]
	v_fmamk_f32 v56, v48, 0x3f6f5d39, v51
	v_fmamk_f32 v98, v13, 0x3f116cb1, v57
	;; [unrolled: 1-line block ×3, first 2 shown]
	v_add_f32_e32 v49, v5, v49
	v_mul_f32_e32 v72, 0x3f29c268, v43
	v_mul_f32_e32 v77, 0xbf3f9e67, v15
	;; [unrolled: 1-line block ×4, first 2 shown]
	v_fmamk_f32 v99, v11, 0xbeb58ec6, v58
	v_fmamk_f32 v101, v48, 0xbf29c268, v66
	;; [unrolled: 1-line block ×3, first 2 shown]
	v_add_f32_e32 v98, v3, v98
	v_add_f32_e32 v100, v5, v100
	;; [unrolled: 1-line block ×3, first 2 shown]
	v_fmamk_f32 v56, v13, 0xbf3f9e67, v83
	v_mul_f32_e32 v78, 0x3df6dbef, v14
	v_mul_f32_e32 v90, 0x3f62ad3f, v14
	;; [unrolled: 1-line block ×3, first 2 shown]
	v_fmamk_f32 v103, v11, 0xbf3f9e67, v72
	v_fmamk_f32 v104, v47, 0x3f29c268, v77
	v_add_f32_e32 v98, v98, v99
	v_fmamk_f32 v99, v11, 0x3df6dbef, v84
	v_add_f32_e32 v102, v3, v102
	v_add_f32_e32 v100, v100, v101
	v_fmamk_f32 v101, v47, 0x3e750f2a, v89
	v_add_f32_e32 v56, v3, v56
	v_mul_f32_e32 v95, 0x3eedf032, v43
	v_fmamk_f32 v105, v48, 0xbf7e222b, v78
	v_add_f32_e32 v104, v5, v104
	v_add_f32_e32 v102, v102, v103
	v_fmamk_f32 v103, v48, 0xbeedf032, v90
	v_add_f32_e32 v101, v5, v101
	v_add_f32_e32 v56, v56, v99
	v_fmamk_f32 v99, v13, 0xbf788fa5, v94
	v_fmac_f32_e32 v89, 0xbe750f2a, v47
	v_fmac_f32_e32 v77, 0xbf29c268, v47
	;; [unrolled: 1-line block ×3, first 2 shown]
	v_add_f32_e32 v104, v104, v105
	v_mul_f32_e32 v105, 0xbf7e222b, v47
	v_add_f32_e32 v101, v101, v103
	v_fmamk_f32 v103, v11, 0x3f62ad3f, v95
	v_fma_f32 v94, 0xbf788fa5, v13, -v94
	v_add_f32_e32 v99, v3, v99
	v_fmac_f32_e32 v90, 0x3eedf032, v48
	v_add_f32_e32 v89, v5, v89
	v_fmac_f32_e32 v65, 0xbf6f5d39, v47
	v_fmac_f32_e32 v50, 0xbf52af12, v47
	v_mul_f32_e32 v106, 0xbeedf032, v47
	v_fmac_f32_e32 v78, 0x3f7e222b, v48
	v_fma_f32 v47, 0xbf3f9e67, v13, -v83
	v_add_f32_e32 v77, v5, v77
	v_sub_f32_e32 v42, v29, v20
	v_fma_f32 v95, 0x3f62ad3f, v11, -v95
	v_add_f32_e32 v94, v3, v94
	v_add_f32_e32 v99, v99, v103
	v_mul_f32_e32 v103, 0xbe750f2a, v48
	v_add_f32_e32 v89, v89, v90
	v_mul_f32_e32 v90, 0xbf7e222b, v44
	v_fmac_f32_e32 v66, 0x3f29c268, v48
	v_fmac_f32_e32 v51, 0xbf6f5d39, v48
	v_mul_f32_e32 v107, 0xbf52af12, v48
	v_fma_f32 v48, 0x3df6dbef, v11, -v84
	v_fma_f32 v71, 0xbeb58ec6, v13, -v71
	v_add_f32_e32 v47, v3, v47
	v_add_f32_e32 v65, v5, v65
	;; [unrolled: 1-line block ×3, first 2 shown]
	v_fmamk_f32 v78, v15, 0x3df6dbef, v105
	v_add_f32_e32 v10, v23, v35
	v_mul_f32_e32 v85, 0xbf52af12, v42
	v_add_f32_e32 v94, v94, v95
	v_mul_f32_e32 v95, 0xbe750f2a, v43
	v_fma_f32 v72, 0xbf3f9e67, v11, -v72
	v_add_f32_e32 v71, v3, v71
	v_add_f32_e32 v47, v47, v48
	v_fmamk_f32 v48, v14, 0xbf788fa5, v103
	v_add_f32_e32 v65, v65, v66
	v_fma_f32 v66, 0x3df6dbef, v13, -v90
	v_add_f32_e32 v78, v5, v78
	v_fma_f32 v25, v12, v38, -v39
	v_add_f32_e32 v12, v20, v29
	v_mul_f32_e32 v96, 0xbf29c268, v42
	v_add_f32_e32 v71, v71, v72
	v_fma_f32 v72, 0xbf788fa5, v11, -v95
	v_add_f32_e32 v66, v3, v66
	v_add_f32_e32 v48, v78, v48
	v_fmamk_f32 v78, v15, 0x3f62ad3f, v106
	v_fmamk_f32 v84, v10, 0x3f116cb1, v85
	v_sub_f32_e32 v46, v35, v23
	v_mul_f32_e32 v52, 0xbf788fa5, v12
	v_mul_f32_e32 v67, 0x3f62ad3f, v12
	v_fma_f32 v57, 0x3f116cb1, v13, -v57
	v_add_f32_e32 v50, v5, v50
	v_add_f32_e32 v66, v66, v72
	v_fmamk_f32 v72, v14, 0x3f116cb1, v107
	v_add_f32_e32 v78, v5, v78
	v_add_f32_e32 v56, v56, v84
	v_fmamk_f32 v84, v10, 0xbf3f9e67, v96
	v_fma_f32 v96, 0xbf3f9e67, v10, -v96
	v_add_f32_e32 v29, v97, v29
	v_add_f32_e32 v36, v64, v36
	;; [unrolled: 1-line block ×3, first 2 shown]
	v_sub_f32_e32 v41, v27, v21
	v_mul_f32_e32 v59, 0xbe750f2a, v42
	v_mul_f32_e32 v73, 0x3eedf032, v42
	;; [unrolled: 1-line block ×3, first 2 shown]
	v_fma_f32 v58, 0xbeb58ec6, v11, -v58
	v_add_f32_e32 v57, v3, v57
	v_add_f32_e32 v50, v50, v51
	v_fmamk_f32 v51, v46, 0x3e750f2a, v52
	v_add_f32_e32 v72, v78, v72
	v_fmamk_f32 v78, v46, 0xbeedf032, v67
	v_add_f32_e32 v94, v94, v96
	v_mul_f32_e32 v96, 0x3f6f5d39, v46
	v_fmac_f32_e32 v67, 0x3eedf032, v46
	v_add_f32_e32 v27, v29, v27
	v_add_f32_e32 v29, v36, v35
	;; [unrolled: 1-line block ×3, first 2 shown]
	v_sub_f32_e32 v39, v26, v22
	v_mul_f32_e32 v91, 0xbf3f9e67, v12
	v_add_f32_e32 v57, v57, v58
	v_fmamk_f32 v58, v10, 0xbf788fa5, v59
	v_add_f32_e32 v49, v49, v51
	v_fmamk_f32 v51, v10, 0x3f62ad3f, v73
	v_fmamk_f32 v83, v46, 0x3f52af12, v79
	v_fmac_f32_e32 v79, 0xbf52af12, v46
	v_add_f32_e32 v65, v65, v67
	v_fmamk_f32 v67, v12, 0xbeb58ec6, v96
	v_add_f32_e32 v26, v27, v26
	v_add_f32_e32 v27, v29, v34
	;; [unrolled: 1-line block ×3, first 2 shown]
	v_mul_f32_e32 v60, 0x3f29c268, v41
	v_add_f32_e32 v58, v98, v58
	v_add_f32_e32 v51, v102, v51
	v_fmamk_f32 v98, v46, 0x3f29c268, v91
	v_fmac_f32_e32 v91, 0xbf29c268, v46
	v_add_f32_e32 v77, v77, v79
	v_mul_f32_e32 v79, 0x3f6f5d39, v42
	v_fma_f32 v73, 0x3f62ad3f, v10, -v73
	v_fmac_f32_e32 v52, 0xbe750f2a, v46
	v_mul_f32_e32 v102, 0xbf7e222b, v46
	v_add_f32_e32 v46, v48, v67
	v_fma_f32 v48, 0xbf788fa5, v10, -v59
	v_add_f32_e32 v26, v26, v28
	v_add_f32_e32 v27, v27, v33
	v_sub_f32_e32 v45, v34, v25
	v_add_f32_e32 v6, v24, v28
	v_sub_f32_e32 v38, v28, v24
	v_mul_f32_e32 v53, 0xbf3f9e67, v9
	v_mul_f32_e32 v80, 0xbf788fa5, v9
	v_add_f32_e32 v71, v71, v73
	v_fma_f32 v73, 0xbeb58ec6, v10, -v79
	v_add_f32_e32 v48, v57, v48
	v_fmamk_f32 v57, v7, 0xbf3f9e67, v60
	v_add_f32_e32 v24, v24, v26
	v_add_f32_e32 v26, v27, v32
	v_mul_f32_e32 v68, 0x3df6dbef, v9
	v_mul_f32_e32 v74, 0xbf7e222b, v41
	v_add_f32_e32 v83, v104, v83
	v_add_f32_e32 v59, v66, v73
	v_fmamk_f32 v66, v12, 0x3df6dbef, v102
	v_add_f32_e32 v50, v50, v52
	v_fmamk_f32 v52, v45, 0xbf29c268, v53
	;; [unrolled: 2-line block ×3, first 2 shown]
	v_add_f32_e32 v24, v22, v24
	v_add_f32_e32 v26, v31, v26
	v_mul_f32_e32 v92, 0x3f116cb1, v9
	v_add_f32_e32 v66, v72, v66
	v_fmamk_f32 v72, v45, 0x3f7e222b, v68
	v_add_f32_e32 v49, v49, v52
	v_fmamk_f32 v52, v7, 0x3df6dbef, v74
	v_add_f32_e32 v58, v83, v58
	v_mul_f32_e32 v83, 0x3eedf032, v41
	v_fmac_f32_e32 v68, 0xbf7e222b, v45
	v_add_f32_e32 v21, v21, v24
	v_add_f32_e32 v24, v30, v26
	v_fma_f32 v26, 0x3df6dbef, v15, -v105
	v_sub_f32_e32 v40, v33, v30
	v_mul_f32_e32 v69, 0xbf788fa5, v8
	v_mul_f32_e32 v86, 0x3e750f2a, v41
	v_add_f32_e32 v78, v100, v78
	v_add_f32_e32 v98, v101, v98
	v_mul_f32_e32 v101, 0x3f52af12, v41
	v_fma_f32 v85, 0x3f116cb1, v10, -v85
	v_add_f32_e32 v51, v51, v52
	v_fmamk_f32 v52, v45, 0xbf52af12, v92
	v_add_f32_e32 v65, v65, v68
	v_fma_f32 v68, 0x3f62ad3f, v7, -v83
	v_add_f32_e32 v20, v20, v21
	v_add_f32_e32 v21, v25, v24
	;; [unrolled: 1-line block ×3, first 2 shown]
	v_fma_f32 v25, 0xbf788fa5, v14, -v103
	v_add_f32_e32 v0, v30, v33
	v_mul_f32_e32 v61, 0x3f7e222b, v39
	v_mul_f32_e32 v87, 0x3eedf032, v39
	v_add_f32_e32 v84, v99, v84
	v_add_f32_e32 v47, v47, v85
	v_mul_f32_e32 v85, 0x3eedf032, v45
	v_add_f32_e32 v72, v78, v72
	v_fmamk_f32 v78, v7, 0x3f116cb1, v101
	v_fmac_f32_e32 v92, 0x3f52af12, v45
	v_add_f32_e32 v52, v98, v52
	v_fma_f32 v98, 0x3f116cb1, v7, -v101
	v_fmac_f32_e32 v80, 0x3e750f2a, v45
	v_fmac_f32_e32 v53, 0x3f29c268, v45
	v_mul_f32_e32 v101, 0xbf6f5d39, v45
	v_fma_f32 v45, 0xbf788fa5, v7, -v86
	v_fma_f32 v74, 0x3df6dbef, v7, -v74
	v_add_f32_e32 v59, v59, v68
	v_fmamk_f32 v68, v40, 0xbe750f2a, v69
	v_add_f32_e32 v18, v18, v20
	v_add_f32_e32 v20, v23, v21
	;; [unrolled: 1-line block ×3, first 2 shown]
	v_fma_f32 v24, 0xbeb58ec6, v12, -v96
	v_fmac_f32_e32 v90, 0x3df6dbef, v13
	v_sub_f32_e32 v37, v32, v31
	v_mul_f32_e32 v70, 0x3f116cb1, v6
	v_mul_f32_e32 v75, 0x3e750f2a, v39
	;; [unrolled: 1-line block ×4, first 2 shown]
	v_add_f32_e32 v78, v84, v78
	v_mul_f32_e32 v84, 0xbf52af12, v39
	v_add_f32_e32 v45, v47, v45
	v_add_f32_e32 v71, v71, v74
	v_fmamk_f32 v74, v0, 0x3df6dbef, v61
	v_fma_f32 v60, 0xbf3f9e67, v7, -v60
	v_add_f32_e32 v68, v72, v68
	v_fmamk_f32 v72, v0, 0x3f62ad3f, v87
	v_fma_f32 v87, 0x3f62ad3f, v0, -v87
	v_fmac_f32_e32 v69, 0x3e750f2a, v40
	v_add_f32_e32 v17, v17, v18
	v_add_f32_e32 v16, v16, v20
	;; [unrolled: 1-line block ×3, first 2 shown]
	v_fma_f32 v20, 0x3f62ad3f, v9, -v85
	v_add_f32_e32 v23, v3, v90
	v_fmac_f32_e32 v95, 0xbf788fa5, v11
	v_fma_f32 v15, 0x3f62ad3f, v15, -v106
	v_add_f32_e32 v4, v31, v32
	v_mul_f32_e32 v63, 0x3eedf032, v38
	v_mul_f32_e32 v99, 0xbf6f5d39, v39
	v_fmamk_f32 v47, v9, 0x3f62ad3f, v85
	v_add_f32_e32 v50, v50, v53
	v_fmamk_f32 v53, v37, 0xbf52af12, v70
	v_add_f32_e32 v48, v48, v60
	;; [unrolled: 2-line block ×3, first 2 shown]
	v_fmamk_f32 v74, v40, 0xbeedf032, v81
	v_fmac_f32_e32 v70, 0x3f52af12, v37
	v_fma_f32 v75, 0xbf788fa5, v0, -v75
	v_add_f32_e32 v87, v45, v87
	v_fma_f32 v45, 0x3f116cb1, v0, -v84
	v_add_f32_e32 v65, v65, v69
	v_add_f32_e32 v16, v19, v16
	;; [unrolled: 1-line block ×3, first 2 shown]
	v_fma_f32 v19, 0x3f116cb1, v8, -v67
	v_add_f32_e32 v20, v23, v95
	v_fmac_f32_e32 v79, 0xbeb58ec6, v10
	v_add_f32_e32 v5, v5, v15
	v_fma_f32 v14, 0x3f116cb1, v14, -v107
	v_mul_f32_e32 v54, 0x3df6dbef, v8
	v_mul_f32_e32 v93, 0xbeb58ec6, v8
	v_fmamk_f32 v73, v7, 0xbf788fa5, v86
	v_add_f32_e32 v86, v94, v98
	v_add_f32_e32 v46, v46, v47
	v_fmamk_f32 v47, v4, 0x3f62ad3f, v63
	v_add_f32_e32 v58, v58, v74
	v_fmamk_f32 v74, v0, 0xbeb58ec6, v99
	v_fma_f32 v98, 0xbeb58ec6, v0, -v99
	v_fma_f32 v99, 0x3f62ad3f, v4, -v63
	v_add_f32_e32 v63, v71, v75
	v_add_f32_e32 v75, v59, v45
	;; [unrolled: 1-line block ×3, first 2 shown]
	v_fmamk_f32 v65, v9, 0xbeb58ec6, v101
	v_mul_f32_e32 v44, 0xbeedf032, v44
	v_add_f32_e32 v15, v18, v19
	v_add_f32_e32 v19, v20, v79
	v_fmac_f32_e32 v83, 0x3f62ad3f, v7
	v_add_f32_e32 v5, v5, v14
	v_fma_f32 v14, 0x3df6dbef, v12, -v102
	v_mul_f32_e32 v62, 0x3f62ad3f, v6
	v_mul_f32_e32 v82, 0xbeb58ec6, v6
	;; [unrolled: 1-line block ×3, first 2 shown]
	v_add_f32_e32 v56, v56, v73
	v_mul_f32_e32 v73, 0xbf29c268, v37
	v_fmamk_f32 v94, v40, 0xbf7e222b, v54
	v_add_f32_e32 v51, v51, v60
	v_fmamk_f32 v60, v40, 0x3f6f5d39, v93
	v_fmac_f32_e32 v93, 0xbf6f5d39, v40
	v_fmac_f32_e32 v81, 0x3eedf032, v40
	;; [unrolled: 1-line block ×3, first 2 shown]
	v_mul_f32_e32 v40, 0xbf29c268, v40
	v_add_f32_e32 v64, v66, v65
	v_fma_f32 v66, 0x3f62ad3f, v13, -v44
	v_mul_f32_e32 v35, 0xbf52af12, v43
	v_fmac_f32_e32 v44, 0x3f62ad3f, v13
	v_add_f32_e32 v13, v19, v83
	v_fmac_f32_e32 v84, 0x3f116cb1, v0
	v_add_f32_e32 v5, v5, v14
	v_fma_f32 v9, 0xbeb58ec6, v9, -v101
	v_add_f32_e32 v77, v77, v80
	v_fmamk_f32 v80, v37, 0xbeedf032, v62
	v_add_f32_e32 v56, v56, v72
	v_fmamk_f32 v72, v37, 0x3f6f5d39, v82
	;; [unrolled: 2-line block ×3, first 2 shown]
	v_fmac_f32_e32 v100, 0x3f7e222b, v37
	v_fmac_f32_e32 v82, 0xbf6f5d39, v37
	;; [unrolled: 1-line block ×3, first 2 shown]
	v_add_f32_e32 v43, v3, v66
	v_fma_f32 v29, 0x3f116cb1, v11, -v35
	v_mul_f32_e32 v34, 0xbf7e222b, v42
	v_mul_f32_e32 v37, 0xbe750f2a, v37
	v_fma_f32 v18, 0xbf3f9e67, v6, -v73
	v_add_f32_e32 v3, v3, v44
	v_fmac_f32_e32 v35, 0x3f116cb1, v11
	v_add_f32_e32 v11, v13, v84
	v_add_f32_e32 v5, v5, v9
	v_fma_f32 v13, 0xbf3f9e67, v8, -v40
	v_fmamk_f32 v65, v8, 0xbf3f9e67, v40
	v_add_f32_e32 v86, v86, v98
	v_fmamk_f32 v98, v8, 0x3f116cb1, v67
	v_add_f32_e32 v77, v77, v81
	;; [unrolled: 2-line block ×3, first 2 shown]
	v_fma_f32 v29, 0x3df6dbef, v10, -v34
	v_mul_f32_e32 v33, 0xbf6f5d39, v41
	v_fmamk_f32 v27, v6, 0xbf788fa5, v37
	v_add_f32_e32 v12, v15, v18
	v_add_f32_e32 v3, v3, v35
	v_fmac_f32_e32 v34, 0x3df6dbef, v10
	v_mad_u64_u32 v[8:9], null, s2, v55, 0
	v_add_f32_e32 v5, v5, v13
	v_fma_f32 v6, 0xbf788fa5, v6, -v37
	v_add_nc_u32_e32 v15, 0x77, v55
	v_add_f32_e32 v36, v64, v65
	v_add_f32_e32 v28, v28, v29
	v_fma_f32 v29, 0xbeb58ec6, v7, -v33
	v_add_f32_e32 v10, v3, v34
	v_fmac_f32_e32 v33, 0xbeb58ec6, v7
	v_add_f32_e32 v3, v5, v6
	v_mad_u64_u32 v[6:7], null, s2, v15, 0
	v_mov_b32_e32 v5, v9
	v_add_f32_e32 v89, v89, v91
	v_add_f32_e32 v22, v36, v27
	v_mul_f32_e32 v27, 0xbf29c268, v39
	v_add_nc_u32_e32 v19, 0xee, v55
	v_add_f32_e32 v18, v10, v33
	v_mad_u64_u32 v[9:10], null, s3, v55, v[5:6]
	v_mul_f32_e32 v76, 0x3f52af12, v38
	v_mul_f32_e32 v88, 0xbf6f5d39, v38
	;; [unrolled: 1-line block ×3, first 2 shown]
	v_add_f32_e32 v89, v89, v92
	v_mul_f32_e32 v92, 0xbf29c268, v38
	v_fma_f32 v61, 0x3df6dbef, v0, -v61
	v_add_f32_e32 v28, v28, v29
	v_fma_f32 v29, 0xbf3f9e67, v0, -v27
	v_mul_f32_e32 v30, 0xbe750f2a, v38
	v_fmac_f32_e32 v27, 0xbf3f9e67, v0
	v_mad_u64_u32 v[13:14], null, s2, v19, 0
	v_mov_b32_e32 v0, v7
	v_add_f32_e32 v49, v49, v94
	v_fmamk_f32 v94, v4, 0x3f116cb1, v76
	v_add_f32_e32 v52, v52, v60
	v_fmamk_f32 v60, v4, 0xbeb58ec6, v88
	;; [unrolled: 2-line block ×3, first 2 shown]
	v_fma_f32 v91, 0x3df6dbef, v4, -v91
	v_fma_f32 v88, 0xbeb58ec6, v4, -v88
	;; [unrolled: 1-line block ×4, first 2 shown]
	v_add_f32_e32 v26, v28, v29
	v_fma_f32 v28, 0xbf788fa5, v4, -v30
	v_fmac_f32_e32 v92, 0xbf3f9e67, v4
	v_fmac_f32_e32 v30, 0xbf788fa5, v4
	v_mad_u64_u32 v[4:5], null, s3, v15, v[0:1]
	v_add_co_u32 v20, vcc_lo, s12, v1
	v_add_co_ci_u32_e32 v23, vcc_lo, s13, v2, vcc_lo
	v_lshlrev_b64 v[1:2], 3, v[8:9]
	v_mov_b32_e32 v0, v14
	v_mov_b32_e32 v7, v4
	v_add_nc_u32_e32 v15, 0x165, v55
	v_add_f32_e32 v10, v18, v27
	v_add_nc_u32_e32 v24, 0x2ca, v55
	v_mad_u64_u32 v[4:5], null, s3, v19, v[0:1]
	v_add_co_u32 v0, vcc_lo, v20, v1
	v_add_co_ci_u32_e32 v1, vcc_lo, v23, v2, vcc_lo
	v_lshlrev_b64 v[5:6], 3, v[6:7]
	v_mad_u64_u32 v[7:8], null, s2, v15, 0
	global_store_dwordx2 v[0:1], v[16:17], off
	v_mov_b32_e32 v14, v4
	v_add_nc_u32_e32 v16, 0x1dc, v55
	v_add_co_u32 v0, vcc_lo, v20, v5
	v_add_f32_e32 v2, v10, v30
	v_add_co_ci_u32_e32 v1, vcc_lo, v23, v6, vcc_lo
	v_lshlrev_b64 v[5:6], 3, v[13:14]
	v_mad_u64_u32 v[9:10], null, s2, v16, 0
	v_mov_b32_e32 v4, v8
	v_add_nc_u32_e32 v19, 0x253, v55
	v_add_f32_e32 v21, v26, v28
	v_add_f32_e32 v71, v46, v98
	;; [unrolled: 1-line block ×3, first 2 shown]
	v_mad_u64_u32 v[13:14], null, s3, v15, v[4:5]
	v_add_co_u32 v4, vcc_lo, v20, v5
	v_add_co_ci_u32_e32 v5, vcc_lo, v23, v6, vcc_lo
	v_mov_b32_e32 v6, v10
	v_mad_u64_u32 v[14:15], null, s2, v19, 0
	v_add_f32_e32 v104, v48, v61
	global_store_dwordx2 v[0:1], v[21:22], off
	v_mad_u64_u32 v[16:17], null, s3, v16, v[6:7]
	v_mad_u64_u32 v[17:18], null, s2, v24, 0
	v_mov_b32_e32 v0, v15
	v_add_f32_e32 v50, v58, v72
	v_add_f32_e32 v58, v63, v76
	;; [unrolled: 1-line block ×4, first 2 shown]
	v_mov_b32_e32 v8, v13
	v_mad_u64_u32 v[0:1], null, s3, v19, v[0:1]
	v_mov_b32_e32 v10, v16
	global_store_dwordx2 v[4:5], v[62:63], off
	v_lshlrev_b64 v[4:5], 3, v[7:8]
	v_mov_b32_e32 v1, v18
	v_add_nc_u32_e32 v13, 0x341, v55
	v_lshlrev_b64 v[6:7], 3, v[9:10]
	v_add_f32_e32 v46, v49, v80
	v_add_f32_e32 v49, v56, v60
	v_mad_u64_u32 v[8:9], null, s3, v24, v[1:2]
	v_add_co_u32 v4, vcc_lo, v20, v4
	v_mad_u64_u32 v[9:10], null, s2, v13, 0
	v_add_f32_e32 v61, v71, v81
	v_add_f32_e32 v60, v75, v69
	v_add_co_ci_u32_e32 v5, vcc_lo, v23, v5, vcc_lo
	v_mov_b32_e32 v15, v0
	v_add_co_u32 v0, vcc_lo, v20, v6
	global_store_dwordx2 v[4:5], v[60:61], off
	v_add_co_ci_u32_e32 v1, vcc_lo, v23, v7, vcc_lo
	v_lshlrev_b64 v[5:6], 3, v[14:15]
	v_mov_b32_e32 v18, v8
	v_mov_b32_e32 v4, v10
	global_store_dwordx2 v[0:1], v[58:59], off
	v_add_f32_e32 v45, v57, v47
	v_add_f32_e32 v48, v68, v53
	v_lshlrev_b64 v[0:1], 3, v[17:18]
	v_mad_u64_u32 v[7:8], null, s3, v13, v[4:5]
	v_add_co_u32 v4, vcc_lo, v20, v5
	v_add_co_ci_u32_e32 v5, vcc_lo, v23, v6, vcc_lo
	v_add_co_u32 v0, vcc_lo, v20, v0
	v_add_f32_e32 v54, v89, v100
	v_add_f32_e32 v53, v86, v91
	;; [unrolled: 1-line block ×4, first 2 shown]
	v_add_co_ci_u32_e32 v1, vcc_lo, v23, v1, vcc_lo
	v_mov_b32_e32 v10, v7
	v_add_nc_u32_e32 v13, 0x3b8, v55
	global_store_dwordx2 v[4:5], v[56:57], off
	global_store_dwordx2 v[0:1], v[53:54], off
	v_add_nc_u32_e32 v15, 0x42f, v55
	v_lshlrev_b64 v[0:1], 3, v[9:10]
	v_add_nc_u32_e32 v10, 0x4a6, v55
	v_mad_u64_u32 v[6:7], null, s2, v13, 0
	v_mad_u64_u32 v[4:5], null, s2, v15, 0
	;; [unrolled: 1-line block ×3, first 2 shown]
	v_add_nc_u32_e32 v19, 0x51d, v55
	v_add_co_u32 v0, vcc_lo, v20, v0
	v_add_nc_u32_e32 v21, 0x594, v55
	v_add_f32_e32 v47, v51, v94
	v_add_f32_e32 v52, v52, v78
	v_mad_u64_u32 v[13:14], null, s3, v13, v[7:8]
	v_mad_u64_u32 v[14:15], null, s3, v15, v[5:6]
	;; [unrolled: 1-line block ×3, first 2 shown]
	v_add_f32_e32 v51, v74, v93
	v_add_co_ci_u32_e32 v1, vcc_lo, v23, v1, vcc_lo
	v_mad_u64_u32 v[17:18], null, s2, v21, 0
	v_mov_b32_e32 v5, v9
	global_store_dwordx2 v[0:1], v[51:52], off
	v_mov_b32_e32 v0, v16
	v_mov_b32_e32 v7, v13
	v_add_f32_e32 v11, v11, v92
	v_mad_u64_u32 v[9:10], null, s3, v10, v[5:6]
	v_mad_u64_u32 v[0:1], null, s3, v19, v[0:1]
	v_mov_b32_e32 v1, v18
	v_mov_b32_e32 v5, v14
	v_lshlrev_b64 v[6:7], 3, v[6:7]
	v_lshlrev_b64 v[8:9], 3, v[8:9]
	v_mad_u64_u32 v[13:14], null, s3, v21, v[1:2]
	v_lshlrev_b64 v[4:5], 3, v[4:5]
	v_add_co_u32 v6, vcc_lo, v20, v6
	v_mov_b32_e32 v16, v0
	v_add_co_ci_u32_e32 v7, vcc_lo, v23, v7, vcc_lo
	v_add_co_u32 v0, vcc_lo, v20, v4
	v_mov_b32_e32 v18, v13
	v_add_co_ci_u32_e32 v1, vcc_lo, v23, v5, vcc_lo
	v_lshlrev_b64 v[4:5], 3, v[15:16]
	v_add_co_u32 v8, vcc_lo, v20, v8
	v_lshlrev_b64 v[13:14], 3, v[17:18]
	v_add_co_ci_u32_e32 v9, vcc_lo, v23, v9, vcc_lo
	v_add_co_u32 v4, vcc_lo, v20, v4
	v_add_co_ci_u32_e32 v5, vcc_lo, v23, v5, vcc_lo
	v_add_co_u32 v13, vcc_lo, v20, v13
	v_add_co_ci_u32_e32 v14, vcc_lo, v23, v14, vcc_lo
	global_store_dwordx2 v[6:7], v[49:50], off
	global_store_dwordx2 v[0:1], v[47:48], off
	;; [unrolled: 1-line block ×5, first 2 shown]
.LBB0_27:
	s_endpgm
	.section	.rodata,"a",@progbits
	.p2align	6, 0x0
	.amdhsa_kernel fft_rtc_fwd_len1547_factors_17_7_13_wgs_119_tpt_119_halfLds_sp_ip_CI_sbrr_dirReg
		.amdhsa_group_segment_fixed_size 0
		.amdhsa_private_segment_fixed_size 0
		.amdhsa_kernarg_size 88
		.amdhsa_user_sgpr_count 6
		.amdhsa_user_sgpr_private_segment_buffer 1
		.amdhsa_user_sgpr_dispatch_ptr 0
		.amdhsa_user_sgpr_queue_ptr 0
		.amdhsa_user_sgpr_kernarg_segment_ptr 1
		.amdhsa_user_sgpr_dispatch_id 0
		.amdhsa_user_sgpr_flat_scratch_init 0
		.amdhsa_user_sgpr_private_segment_size 0
		.amdhsa_wavefront_size32 1
		.amdhsa_uses_dynamic_stack 0
		.amdhsa_system_sgpr_private_segment_wavefront_offset 0
		.amdhsa_system_sgpr_workgroup_id_x 1
		.amdhsa_system_sgpr_workgroup_id_y 0
		.amdhsa_system_sgpr_workgroup_id_z 0
		.amdhsa_system_sgpr_workgroup_info 0
		.amdhsa_system_vgpr_workitem_id 0
		.amdhsa_next_free_vgpr 108
		.amdhsa_next_free_sgpr 23
		.amdhsa_reserve_vcc 1
		.amdhsa_reserve_flat_scratch 0
		.amdhsa_float_round_mode_32 0
		.amdhsa_float_round_mode_16_64 0
		.amdhsa_float_denorm_mode_32 3
		.amdhsa_float_denorm_mode_16_64 3
		.amdhsa_dx10_clamp 1
		.amdhsa_ieee_mode 1
		.amdhsa_fp16_overflow 0
		.amdhsa_workgroup_processor_mode 1
		.amdhsa_memory_ordered 1
		.amdhsa_forward_progress 0
		.amdhsa_shared_vgpr_count 0
		.amdhsa_exception_fp_ieee_invalid_op 0
		.amdhsa_exception_fp_denorm_src 0
		.amdhsa_exception_fp_ieee_div_zero 0
		.amdhsa_exception_fp_ieee_overflow 0
		.amdhsa_exception_fp_ieee_underflow 0
		.amdhsa_exception_fp_ieee_inexact 0
		.amdhsa_exception_int_div_zero 0
	.end_amdhsa_kernel
	.text
.Lfunc_end0:
	.size	fft_rtc_fwd_len1547_factors_17_7_13_wgs_119_tpt_119_halfLds_sp_ip_CI_sbrr_dirReg, .Lfunc_end0-fft_rtc_fwd_len1547_factors_17_7_13_wgs_119_tpt_119_halfLds_sp_ip_CI_sbrr_dirReg
                                        ; -- End function
	.section	.AMDGPU.csdata,"",@progbits
; Kernel info:
; codeLenInByte = 13380
; NumSgprs: 25
; NumVgprs: 108
; ScratchSize: 0
; MemoryBound: 0
; FloatMode: 240
; IeeeMode: 1
; LDSByteSize: 0 bytes/workgroup (compile time only)
; SGPRBlocks: 3
; VGPRBlocks: 13
; NumSGPRsForWavesPerEU: 25
; NumVGPRsForWavesPerEU: 108
; Occupancy: 9
; WaveLimiterHint : 1
; COMPUTE_PGM_RSRC2:SCRATCH_EN: 0
; COMPUTE_PGM_RSRC2:USER_SGPR: 6
; COMPUTE_PGM_RSRC2:TRAP_HANDLER: 0
; COMPUTE_PGM_RSRC2:TGID_X_EN: 1
; COMPUTE_PGM_RSRC2:TGID_Y_EN: 0
; COMPUTE_PGM_RSRC2:TGID_Z_EN: 0
; COMPUTE_PGM_RSRC2:TIDIG_COMP_CNT: 0
	.text
	.p2alignl 6, 3214868480
	.fill 48, 4, 3214868480
	.type	__hip_cuid_318dc9f7e7ca20ae,@object ; @__hip_cuid_318dc9f7e7ca20ae
	.section	.bss,"aw",@nobits
	.globl	__hip_cuid_318dc9f7e7ca20ae
__hip_cuid_318dc9f7e7ca20ae:
	.byte	0                               ; 0x0
	.size	__hip_cuid_318dc9f7e7ca20ae, 1

	.ident	"AMD clang version 19.0.0git (https://github.com/RadeonOpenCompute/llvm-project roc-6.4.0 25133 c7fe45cf4b819c5991fe208aaa96edf142730f1d)"
	.section	".note.GNU-stack","",@progbits
	.addrsig
	.addrsig_sym __hip_cuid_318dc9f7e7ca20ae
	.amdgpu_metadata
---
amdhsa.kernels:
  - .args:
      - .actual_access:  read_only
        .address_space:  global
        .offset:         0
        .size:           8
        .value_kind:     global_buffer
      - .offset:         8
        .size:           8
        .value_kind:     by_value
      - .actual_access:  read_only
        .address_space:  global
        .offset:         16
        .size:           8
        .value_kind:     global_buffer
      - .actual_access:  read_only
        .address_space:  global
        .offset:         24
        .size:           8
        .value_kind:     global_buffer
      - .offset:         32
        .size:           8
        .value_kind:     by_value
      - .actual_access:  read_only
        .address_space:  global
        .offset:         40
        .size:           8
        .value_kind:     global_buffer
      - .actual_access:  read_only
        .address_space:  global
        .offset:         48
        .size:           8
        .value_kind:     global_buffer
      - .offset:         56
        .size:           4
        .value_kind:     by_value
      - .actual_access:  read_only
        .address_space:  global
        .offset:         64
        .size:           8
        .value_kind:     global_buffer
      - .actual_access:  read_only
        .address_space:  global
        .offset:         72
        .size:           8
        .value_kind:     global_buffer
      - .address_space:  global
        .offset:         80
        .size:           8
        .value_kind:     global_buffer
    .group_segment_fixed_size: 0
    .kernarg_segment_align: 8
    .kernarg_segment_size: 88
    .language:       OpenCL C
    .language_version:
      - 2
      - 0
    .max_flat_workgroup_size: 119
    .name:           fft_rtc_fwd_len1547_factors_17_7_13_wgs_119_tpt_119_halfLds_sp_ip_CI_sbrr_dirReg
    .private_segment_fixed_size: 0
    .sgpr_count:     25
    .sgpr_spill_count: 0
    .symbol:         fft_rtc_fwd_len1547_factors_17_7_13_wgs_119_tpt_119_halfLds_sp_ip_CI_sbrr_dirReg.kd
    .uniform_work_group_size: 1
    .uses_dynamic_stack: false
    .vgpr_count:     108
    .vgpr_spill_count: 0
    .wavefront_size: 32
    .workgroup_processor_mode: 1
amdhsa.target:   amdgcn-amd-amdhsa--gfx1030
amdhsa.version:
  - 1
  - 2
...

	.end_amdgpu_metadata
